;; amdgpu-corpus repo=ROCm/rocFFT kind=compiled arch=gfx950 opt=O3
	.text
	.amdgcn_target "amdgcn-amd-amdhsa--gfx950"
	.amdhsa_code_object_version 6
	.protected	fft_rtc_back_len924_factors_2_2_3_7_11_wgs_44_tpt_44_halfLds_sp_op_CI_CI_unitstride_sbrr_C2R_dirReg ; -- Begin function fft_rtc_back_len924_factors_2_2_3_7_11_wgs_44_tpt_44_halfLds_sp_op_CI_CI_unitstride_sbrr_C2R_dirReg
	.globl	fft_rtc_back_len924_factors_2_2_3_7_11_wgs_44_tpt_44_halfLds_sp_op_CI_CI_unitstride_sbrr_C2R_dirReg
	.p2align	8
	.type	fft_rtc_back_len924_factors_2_2_3_7_11_wgs_44_tpt_44_halfLds_sp_op_CI_CI_unitstride_sbrr_C2R_dirReg,@function
fft_rtc_back_len924_factors_2_2_3_7_11_wgs_44_tpt_44_halfLds_sp_op_CI_CI_unitstride_sbrr_C2R_dirReg: ; @fft_rtc_back_len924_factors_2_2_3_7_11_wgs_44_tpt_44_halfLds_sp_op_CI_CI_unitstride_sbrr_C2R_dirReg
; %bb.0:
	s_load_dwordx4 s[4:7], s[0:1], 0x58
	s_load_dwordx4 s[8:11], s[0:1], 0x0
	;; [unrolled: 1-line block ×3, first 2 shown]
	v_mul_u32_u24_e32 v1, 0x5d2, v0
	v_add_u32_sdwa v6, s2, v1 dst_sel:DWORD dst_unused:UNUSED_PAD src0_sel:DWORD src1_sel:WORD_1
	v_mov_b32_e32 v4, 0
	s_waitcnt lgkmcnt(0)
	v_cmp_lt_u64_e64 s[2:3], s[10:11], 2
	v_mov_b32_e32 v7, v4
	s_and_b64 vcc, exec, s[2:3]
	v_mov_b64_e32 v[2:3], 0
	s_cbranch_vccnz .LBB0_8
; %bb.1:
	s_load_dwordx2 s[2:3], s[0:1], 0x10
	s_add_u32 s16, s14, 8
	s_addc_u32 s17, s15, 0
	s_add_u32 s18, s12, 8
	s_addc_u32 s19, s13, 0
	s_waitcnt lgkmcnt(0)
	s_add_u32 s20, s2, 8
	v_mov_b64_e32 v[2:3], 0
	s_addc_u32 s21, s3, 0
	s_mov_b64 s[22:23], 1
	v_mov_b64_e32 v[60:61], v[2:3]
.LBB0_2:                                ; =>This Inner Loop Header: Depth=1
	s_load_dwordx2 s[24:25], s[20:21], 0x0
                                        ; implicit-def: $vgpr64_vgpr65
	s_waitcnt lgkmcnt(0)
	v_or_b32_e32 v5, s25, v7
	v_cmp_ne_u64_e32 vcc, 0, v[4:5]
	s_and_saveexec_b64 s[2:3], vcc
	s_xor_b64 s[26:27], exec, s[2:3]
	s_cbranch_execz .LBB0_4
; %bb.3:                                ;   in Loop: Header=BB0_2 Depth=1
	v_cvt_f32_u32_e32 v1, s24
	v_cvt_f32_u32_e32 v5, s25
	s_sub_u32 s2, 0, s24
	s_subb_u32 s3, 0, s25
	v_fmac_f32_e32 v1, 0x4f800000, v5
	v_rcp_f32_e32 v1, v1
	s_nop 0
	v_mul_f32_e32 v1, 0x5f7ffffc, v1
	v_mul_f32_e32 v5, 0x2f800000, v1
	v_trunc_f32_e32 v5, v5
	v_fmac_f32_e32 v1, 0xcf800000, v5
	v_cvt_u32_f32_e32 v5, v5
	v_cvt_u32_f32_e32 v1, v1
	v_mul_lo_u32 v8, s2, v5
	v_mul_hi_u32 v10, s2, v1
	v_mul_lo_u32 v9, s3, v1
	v_add_u32_e32 v10, v10, v8
	v_mul_lo_u32 v12, s2, v1
	v_add_u32_e32 v13, v10, v9
	v_mul_hi_u32 v8, v1, v12
	v_mul_hi_u32 v11, v1, v13
	v_mul_lo_u32 v10, v1, v13
	v_mov_b32_e32 v9, v4
	v_lshl_add_u64 v[8:9], v[8:9], 0, v[10:11]
	v_mul_hi_u32 v11, v5, v12
	v_mul_lo_u32 v12, v5, v12
	v_add_co_u32_e32 v8, vcc, v8, v12
	v_mul_hi_u32 v10, v5, v13
	s_nop 0
	v_addc_co_u32_e32 v8, vcc, v9, v11, vcc
	v_mov_b32_e32 v9, v4
	s_nop 0
	v_addc_co_u32_e32 v11, vcc, 0, v10, vcc
	v_mul_lo_u32 v10, v5, v13
	v_lshl_add_u64 v[8:9], v[8:9], 0, v[10:11]
	v_add_co_u32_e32 v1, vcc, v1, v8
	v_mul_lo_u32 v10, s2, v1
	s_nop 0
	v_addc_co_u32_e32 v5, vcc, v5, v9, vcc
	v_mul_lo_u32 v8, s2, v5
	v_mul_hi_u32 v9, s2, v1
	v_add_u32_e32 v8, v9, v8
	v_mul_lo_u32 v9, s3, v1
	v_add_u32_e32 v12, v8, v9
	v_mul_hi_u32 v14, v5, v10
	v_mul_lo_u32 v15, v5, v10
	v_mul_hi_u32 v9, v1, v12
	v_mul_lo_u32 v8, v1, v12
	v_mul_hi_u32 v10, v1, v10
	v_mov_b32_e32 v11, v4
	v_lshl_add_u64 v[8:9], v[10:11], 0, v[8:9]
	v_add_co_u32_e32 v8, vcc, v8, v15
	v_mul_hi_u32 v13, v5, v12
	s_nop 0
	v_addc_co_u32_e32 v8, vcc, v9, v14, vcc
	v_mul_lo_u32 v10, v5, v12
	s_nop 0
	v_addc_co_u32_e32 v11, vcc, 0, v13, vcc
	v_mov_b32_e32 v9, v4
	v_lshl_add_u64 v[8:9], v[8:9], 0, v[10:11]
	v_add_co_u32_e32 v1, vcc, v1, v8
	v_mul_hi_u32 v10, v6, v1
	s_nop 0
	v_addc_co_u32_e32 v5, vcc, v5, v9, vcc
	v_mad_u64_u32 v[8:9], s[2:3], v6, v5, 0
	v_mov_b32_e32 v11, v4
	v_lshl_add_u64 v[8:9], v[10:11], 0, v[8:9]
	v_mad_u64_u32 v[12:13], s[2:3], v7, v1, 0
	v_add_co_u32_e32 v1, vcc, v8, v12
	v_mad_u64_u32 v[10:11], s[2:3], v7, v5, 0
	s_nop 0
	v_addc_co_u32_e32 v8, vcc, v9, v13, vcc
	v_mov_b32_e32 v9, v4
	s_nop 0
	v_addc_co_u32_e32 v11, vcc, 0, v11, vcc
	v_lshl_add_u64 v[8:9], v[8:9], 0, v[10:11]
	v_mul_lo_u32 v1, s25, v8
	v_mul_lo_u32 v5, s24, v9
	v_mad_u64_u32 v[10:11], s[2:3], s24, v8, 0
	v_add3_u32 v1, v11, v5, v1
	v_sub_u32_e32 v5, v7, v1
	v_mov_b32_e32 v11, s25
	v_sub_co_u32_e32 v14, vcc, v6, v10
	v_lshl_add_u64 v[12:13], v[8:9], 0, 1
	s_nop 0
	v_subb_co_u32_e64 v5, s[2:3], v5, v11, vcc
	v_subrev_co_u32_e64 v10, s[2:3], s24, v14
	v_subb_co_u32_e32 v1, vcc, v7, v1, vcc
	s_nop 0
	v_subbrev_co_u32_e64 v5, s[2:3], 0, v5, s[2:3]
	v_cmp_le_u32_e64 s[2:3], s25, v5
	v_cmp_le_u32_e32 vcc, s25, v1
	s_nop 0
	v_cndmask_b32_e64 v11, 0, -1, s[2:3]
	v_cmp_le_u32_e64 s[2:3], s24, v10
	s_nop 1
	v_cndmask_b32_e64 v10, 0, -1, s[2:3]
	v_cmp_eq_u32_e64 s[2:3], s25, v5
	s_nop 1
	v_cndmask_b32_e64 v5, v11, v10, s[2:3]
	v_lshl_add_u64 v[10:11], v[8:9], 0, 2
	v_cmp_ne_u32_e64 s[2:3], 0, v5
	s_nop 1
	v_cndmask_b32_e64 v5, v13, v11, s[2:3]
	v_cndmask_b32_e64 v11, 0, -1, vcc
	v_cmp_le_u32_e32 vcc, s24, v14
	s_nop 1
	v_cndmask_b32_e64 v13, 0, -1, vcc
	v_cmp_eq_u32_e32 vcc, s25, v1
	s_nop 1
	v_cndmask_b32_e32 v1, v11, v13, vcc
	v_cmp_ne_u32_e32 vcc, 0, v1
	v_cndmask_b32_e64 v1, v12, v10, s[2:3]
	s_nop 0
	v_cndmask_b32_e32 v65, v9, v5, vcc
	v_cndmask_b32_e32 v64, v8, v1, vcc
.LBB0_4:                                ;   in Loop: Header=BB0_2 Depth=1
	s_andn2_saveexec_b64 s[2:3], s[26:27]
	s_cbranch_execz .LBB0_6
; %bb.5:                                ;   in Loop: Header=BB0_2 Depth=1
	v_cvt_f32_u32_e32 v1, s24
	s_sub_i32 s26, 0, s24
	v_mov_b32_e32 v65, v4
	v_rcp_iflag_f32_e32 v1, v1
	s_nop 0
	v_mul_f32_e32 v1, 0x4f7ffffe, v1
	v_cvt_u32_f32_e32 v1, v1
	v_mul_lo_u32 v5, s26, v1
	v_mul_hi_u32 v5, v1, v5
	v_add_u32_e32 v1, v1, v5
	v_mul_hi_u32 v1, v6, v1
	v_mul_lo_u32 v5, v1, s24
	v_sub_u32_e32 v5, v6, v5
	v_add_u32_e32 v8, 1, v1
	v_subrev_u32_e32 v9, s24, v5
	v_cmp_le_u32_e32 vcc, s24, v5
	s_nop 1
	v_cndmask_b32_e32 v5, v5, v9, vcc
	v_cndmask_b32_e32 v1, v1, v8, vcc
	v_add_u32_e32 v8, 1, v1
	v_cmp_le_u32_e32 vcc, s24, v5
	s_nop 1
	v_cndmask_b32_e32 v64, v1, v8, vcc
.LBB0_6:                                ;   in Loop: Header=BB0_2 Depth=1
	s_or_b64 exec, exec, s[2:3]
	v_mad_u64_u32 v[8:9], s[2:3], v64, s24, 0
	s_load_dwordx2 s[2:3], s[18:19], 0x0
	v_mul_lo_u32 v1, v65, s24
	v_mul_lo_u32 v5, v64, s25
	s_load_dwordx2 s[24:25], s[16:17], 0x0
	s_add_u32 s22, s22, 1
	v_add3_u32 v1, v9, v5, v1
	v_sub_co_u32_e32 v5, vcc, v6, v8
	s_addc_u32 s23, s23, 0
	s_nop 0
	v_subb_co_u32_e32 v1, vcc, v7, v1, vcc
	s_add_u32 s16, s16, 8
	s_waitcnt lgkmcnt(0)
	v_mul_lo_u32 v6, s2, v1
	v_mul_lo_u32 v7, s3, v5
	v_mad_u64_u32 v[2:3], s[2:3], s2, v5, v[2:3]
	s_addc_u32 s17, s17, 0
	v_add3_u32 v3, v7, v3, v6
	v_mul_lo_u32 v1, s24, v1
	v_mul_lo_u32 v6, s25, v5
	v_mad_u64_u32 v[60:61], s[2:3], s24, v5, v[60:61]
	s_add_u32 s18, s18, 8
	v_add3_u32 v61, v6, v61, v1
	s_addc_u32 s19, s19, 0
	v_mov_b64_e32 v[6:7], s[10:11]
	s_add_u32 s20, s20, 8
	v_cmp_ge_u64_e32 vcc, s[22:23], v[6:7]
	s_addc_u32 s21, s21, 0
	s_cbranch_vccnz .LBB0_9
; %bb.7:                                ;   in Loop: Header=BB0_2 Depth=1
	v_mov_b64_e32 v[6:7], v[64:65]
	s_branch .LBB0_2
.LBB0_8:
	v_mov_b64_e32 v[60:61], v[2:3]
	v_mov_b64_e32 v[64:65], v[6:7]
.LBB0_9:
	s_load_dwordx2 s[18:19], s[0:1], 0x28
	s_lshl_b64 s[16:17], s[10:11], 3
	s_add_u32 s2, s14, s16
	s_addc_u32 s3, s15, s17
                                        ; implicit-def: $vgpr62
	s_waitcnt lgkmcnt(0)
	v_cmp_gt_u64_e64 s[0:1], s[18:19], v[64:65]
	v_cmp_le_u64_e32 vcc, s[18:19], v[64:65]
	s_and_saveexec_b64 s[10:11], vcc
	s_xor_b64 s[10:11], exec, s[10:11]
; %bb.10:
	s_mov_b32 s14, 0x5d1745e
	v_mul_hi_u32 v1, v0, s14
	v_mul_u32_u24_e32 v1, 44, v1
	v_sub_u32_e32 v62, v0, v1
                                        ; implicit-def: $vgpr0
                                        ; implicit-def: $vgpr2_vgpr3
; %bb.11:
	s_or_saveexec_b64 s[10:11], s[10:11]
	s_load_dwordx2 s[2:3], s[2:3], 0x0
	s_xor_b64 exec, exec, s[10:11]
	s_cbranch_execz .LBB0_15
; %bb.12:
	s_add_u32 s12, s12, s16
	s_addc_u32 s13, s13, s17
	s_load_dwordx2 s[12:13], s[12:13], 0x0
	s_mov_b32 s14, 0x5d1745e
	s_waitcnt lgkmcnt(0)
	v_mul_lo_u32 v1, s13, v64
	v_mul_lo_u32 v6, s12, v65
	v_mad_u64_u32 v[4:5], s[12:13], s12, v64, 0
	v_add3_u32 v5, v5, v6, v1
	v_mul_hi_u32 v1, v0, s14
	v_mul_u32_u24_e32 v1, 44, v1
	v_sub_u32_e32 v62, v0, v1
	v_lshl_add_u64 v[0:1], v[4:5], 3, s[4:5]
	v_lshl_add_u64 v[2:3], v[2:3], 3, v[0:1]
	v_lshlrev_b32_e32 v0, 3, v62
	v_mov_b32_e32 v1, 0
	v_lshl_add_u64 v[4:5], v[2:3], 0, v[0:1]
	s_movk_i32 s4, 0x1000
	v_add_u32_e32 v50, 0, v0
	global_load_dwordx2 v[6:7], v[4:5], off
	global_load_dwordx2 v[8:9], v[4:5], off offset:352
	global_load_dwordx2 v[10:11], v[4:5], off offset:704
	;; [unrolled: 1-line block ×11, first 2 shown]
	v_add_co_u32_e32 v4, vcc, s4, v4
	v_or_b32_e32 v0, 0x1600, v0
	s_nop 0
	v_addc_co_u32_e32 v5, vcc, 0, v5, vcc
	v_lshl_add_u64 v[38:39], v[2:3], 0, v[0:1]
	global_load_dwordx2 v[30:31], v[4:5], off offset:128
	global_load_dwordx2 v[32:33], v[4:5], off offset:480
	;; [unrolled: 1-line block ×4, first 2 shown]
	global_load_dwordx2 v[40:41], v[38:39], off
	global_load_dwordx2 v[42:43], v[4:5], off offset:1888
	global_load_dwordx2 v[44:45], v[4:5], off offset:2240
	;; [unrolled: 1-line block ×4, first 2 shown]
	v_cmp_eq_u32_e32 vcc, 43, v62
	v_add_u32_e32 v0, 0x800, v50
	v_add_u32_e32 v4, 0x1000, v50
	v_add_u32_e32 v5, 0x1800, v50
	s_waitcnt vmcnt(19)
	ds_write2_b64 v50, v[6:7], v[8:9] offset1:44
	s_waitcnt vmcnt(17)
	ds_write2_b64 v50, v[10:11], v[12:13] offset0:88 offset1:132
	s_waitcnt vmcnt(15)
	ds_write2_b64 v50, v[14:15], v[16:17] offset0:176 offset1:220
	;; [unrolled: 2-line block ×9, first 2 shown]
	s_waitcnt vmcnt(0)
	ds_write_b64 v50, v[48:49] offset:7040
	s_and_saveexec_b64 s[4:5], vcc
	s_cbranch_execz .LBB0_14
; %bb.13:
	v_add_co_u32_e32 v2, vcc, 0x1000, v2
	v_mov_b32_e32 v62, 43
	s_nop 0
	v_addc_co_u32_e32 v3, vcc, 0, v3, vcc
	global_load_dwordx2 v[2:3], v[2:3], off offset:3296
	s_waitcnt vmcnt(0)
	ds_write_b64 v1, v[2:3] offset:7392
.LBB0_14:
	s_or_b64 exec, exec, s[4:5]
.LBB0_15:
	s_or_b64 exec, exec, s[10:11]
	v_lshlrev_b32_e32 v0, 3, v62
	v_add_u32_e32 v82, 0, v0
	s_waitcnt lgkmcnt(0)
	; wave barrier
	s_waitcnt lgkmcnt(0)
	v_sub_u32_e32 v4, 0, v0
	ds_read_b32 v0, v82
	ds_read_b32 v1, v4 offset:7392
	s_add_u32 s4, s8, 0x1cd0
	s_addc_u32 s5, s9, 0
	v_cmp_ne_u32_e32 vcc, 0, v62
	s_waitcnt lgkmcnt(0)
	v_add_f32_e32 v2, v1, v0
	v_sub_f32_e32 v3, v0, v1
                                        ; implicit-def: $vgpr0_vgpr1
	s_and_saveexec_b64 s[10:11], vcc
	s_xor_b64 s[10:11], exec, s[10:11]
	s_cbranch_execz .LBB0_17
; %bb.16:
	v_mov_b32_e32 v63, 0
	v_lshl_add_u64 v[0:1], v[62:63], 3, s[4:5]
	global_load_dwordx2 v[6:7], v[0:1], off
	ds_read_b32 v5, v4 offset:7396
	ds_read_b32 v11, v82 offset:4
	v_mov_b32_e32 v8, v3
	v_mov_b32_e32 v10, v2
	;; [unrolled: 1-line block ×3, first 2 shown]
	v_mov_b64_e32 v[0:1], v[62:63]
	s_waitcnt lgkmcnt(0)
	v_add_f32_e32 v9, v5, v11
	v_sub_f32_e32 v11, v11, v5
	v_mov_b32_e32 v12, v9
	s_waitcnt vmcnt(0)
	v_pk_mul_f32 v[14:15], v[8:9], v[6:7] op_sel:[0,1]
	v_pk_fma_f32 v[8:9], v[8:9], v[6:7], v[10:11] op_sel:[0,1,0]
	v_mov_b32_e32 v3, v15
	v_mov_b32_e32 v15, v11
	v_pk_fma_f32 v[16:17], v[6:7], v[12:13], v[8:9] neg_lo:[1,0,0] neg_hi:[1,0,0]
	v_pk_fma_f32 v[8:9], v[6:7], v[12:13], v[8:9] op_sel_hi:[0,1,1]
	v_pk_add_f32 v[2:3], v[2:3], v[14:15] neg_lo:[0,1] neg_hi:[0,1]
	v_mov_b32_e32 v17, v9
	v_pk_fma_f32 v[2:3], v[6:7], v[12:13], v[2:3] op_sel_hi:[0,1,1]
	ds_write_b64 v4, v[2:3] offset:7392
	v_mov_b64_e32 v[2:3], v[16:17]
.LBB0_17:
	s_andn2_saveexec_b64 s[10:11], s[10:11]
	s_cbranch_execz .LBB0_19
; %bb.18:
	v_mov_b32_e32 v5, 0
	ds_read_b64 v[0:1], v5 offset:3696
	s_mov_b32 s12, 2.0
	s_mov_b32 s13, -2.0
	s_waitcnt lgkmcnt(0)
	v_pk_mul_f32 v[0:1], v[0:1], s[12:13]
	ds_write_b64 v5, v[0:1] offset:3696
	v_mov_b64_e32 v[0:1], 0
.LBB0_19:
	s_or_b64 exec, exec, s[10:11]
	v_lshl_add_u64 v[0:1], v[0:1], 3, s[4:5]
	global_load_dwordx2 v[6:7], v[0:1], off offset:352
	global_load_dwordx2 v[8:9], v[0:1], off offset:704
	;; [unrolled: 1-line block ×4, first 2 shown]
	ds_write_b64 v82, v[2:3]
	ds_read_b64 v[2:3], v4 offset:7040
	ds_read_b64 v[14:15], v82 offset:352
	global_load_dwordx2 v[16:17], v[0:1], off offset:1760
	v_cmp_gt_u32_e32 vcc, 22, v62
	s_waitcnt lgkmcnt(0)
	v_pk_add_f32 v[18:19], v[14:15], v[2:3]
	v_pk_add_f32 v[2:3], v[14:15], v[2:3] neg_lo:[0,1] neg_hi:[0,1]
	v_mov_b32_e32 v14, v19
	v_mov_b32_e32 v15, v2
	v_mov_b32_e32 v19, v3
	s_waitcnt vmcnt(4)
	v_pk_mul_f32 v[20:21], v[14:15], v[6:7] op_sel:[0,1]
	s_nop 0
	v_pk_add_f32 v[22:23], v[18:19], v[20:21] op_sel:[0,1] op_sel_hi:[1,0]
	v_mov_b32_e32 v19, v20
	v_mov_b32_e32 v2, v21
	v_pk_fma_f32 v[20:21], v[6:7], v[14:15], v[22:23] neg_lo:[1,0,0] neg_hi:[1,0,0]
	v_pk_fma_f32 v[22:23], v[6:7], v[14:15], v[22:23] op_sel_hi:[0,1,1]
	v_pk_add_f32 v[2:3], v[18:19], v[2:3] neg_lo:[0,1] neg_hi:[0,1]
	v_mov_b32_e32 v21, v23
	v_pk_fma_f32 v[2:3], v[6:7], v[14:15], v[2:3] op_sel_hi:[0,1,1]
	ds_write_b64 v82, v[20:21] offset:352
	ds_write_b64 v4, v[2:3] offset:7040
	ds_read_b64 v[2:3], v4 offset:6688
	ds_read_b64 v[6:7], v82 offset:704
	global_load_dwordx2 v[14:15], v[0:1], off offset:2112
	s_waitcnt lgkmcnt(0)
	v_pk_add_f32 v[18:19], v[6:7], v[2:3]
	v_pk_add_f32 v[2:3], v[6:7], v[2:3] neg_lo:[0,1] neg_hi:[0,1]
	v_mov_b32_e32 v6, v19
	v_mov_b32_e32 v7, v2
	v_mov_b32_e32 v19, v3
	s_waitcnt vmcnt(4)
	v_pk_mul_f32 v[20:21], v[6:7], v[8:9] op_sel:[0,1]
	s_nop 0
	v_pk_add_f32 v[22:23], v[18:19], v[20:21] op_sel:[0,1] op_sel_hi:[1,0]
	v_mov_b32_e32 v19, v20
	v_mov_b32_e32 v2, v21
	v_pk_fma_f32 v[20:21], v[8:9], v[6:7], v[22:23] neg_lo:[1,0,0] neg_hi:[1,0,0]
	v_pk_fma_f32 v[22:23], v[8:9], v[6:7], v[22:23] op_sel_hi:[0,1,1]
	v_pk_add_f32 v[2:3], v[18:19], v[2:3] neg_lo:[0,1] neg_hi:[0,1]
	v_mov_b32_e32 v21, v23
	v_pk_fma_f32 v[2:3], v[8:9], v[6:7], v[2:3] op_sel_hi:[0,1,1]
	ds_write_b64 v82, v[20:21] offset:704
	ds_write_b64 v4, v[2:3] offset:6688
	ds_read_b64 v[2:3], v4 offset:6336
	ds_read_b64 v[6:7], v82 offset:1056
	global_load_dwordx2 v[8:9], v[0:1], off offset:2464
	;; [unrolled: 22-line block ×4, first 2 shown]
	s_waitcnt lgkmcnt(0)
	v_pk_add_f32 v[18:19], v[6:7], v[2:3]
	v_pk_add_f32 v[2:3], v[6:7], v[2:3] neg_lo:[0,1] neg_hi:[0,1]
	v_mov_b32_e32 v6, v19
	v_mov_b32_e32 v7, v2
	v_mov_b32_e32 v19, v3
	s_waitcnt vmcnt(4)
	v_pk_mul_f32 v[20:21], v[6:7], v[16:17] op_sel:[0,1]
	s_nop 0
	v_pk_add_f32 v[22:23], v[18:19], v[20:21] op_sel:[0,1] op_sel_hi:[1,0]
	v_mov_b32_e32 v19, v20
	v_mov_b32_e32 v2, v21
	v_pk_fma_f32 v[20:21], v[16:17], v[6:7], v[22:23] neg_lo:[1,0,0] neg_hi:[1,0,0]
	v_pk_fma_f32 v[22:23], v[16:17], v[6:7], v[22:23] op_sel_hi:[0,1,1]
	v_pk_add_f32 v[2:3], v[18:19], v[2:3] neg_lo:[0,1] neg_hi:[0,1]
	v_mov_b32_e32 v21, v23
	v_pk_fma_f32 v[2:3], v[16:17], v[6:7], v[2:3] op_sel_hi:[0,1,1]
	ds_write_b64 v82, v[20:21] offset:1760
	ds_write_b64 v4, v[2:3] offset:5632
	ds_read_b64 v[2:3], v4 offset:5280
	ds_read_b64 v[6:7], v82 offset:2112
	s_waitcnt lgkmcnt(0)
	v_pk_add_f32 v[16:17], v[6:7], v[2:3]
	v_pk_add_f32 v[2:3], v[6:7], v[2:3] neg_lo:[0,1] neg_hi:[0,1]
	v_mov_b32_e32 v6, v17
	v_mov_b32_e32 v7, v2
	v_mov_b32_e32 v17, v3
	s_waitcnt vmcnt(3)
	v_pk_mul_f32 v[18:19], v[6:7], v[14:15] op_sel:[0,1]
	s_nop 0
	v_pk_add_f32 v[20:21], v[16:17], v[18:19] op_sel:[0,1] op_sel_hi:[1,0]
	v_mov_b32_e32 v17, v18
	v_mov_b32_e32 v2, v19
	v_pk_fma_f32 v[18:19], v[14:15], v[6:7], v[20:21] neg_lo:[1,0,0] neg_hi:[1,0,0]
	v_pk_fma_f32 v[20:21], v[14:15], v[6:7], v[20:21] op_sel_hi:[0,1,1]
	v_pk_add_f32 v[2:3], v[16:17], v[2:3] neg_lo:[0,1] neg_hi:[0,1]
	v_mov_b32_e32 v19, v21
	v_pk_fma_f32 v[2:3], v[14:15], v[6:7], v[2:3] op_sel_hi:[0,1,1]
	ds_write_b64 v82, v[18:19] offset:2112
	ds_write_b64 v4, v[2:3] offset:5280
	ds_read_b64 v[2:3], v4 offset:4928
	ds_read_b64 v[6:7], v82 offset:2464
	;; [unrolled: 21-line block ×4, first 2 shown]
	s_waitcnt lgkmcnt(0)
	v_pk_add_f32 v[8:9], v[6:7], v[2:3]
	v_pk_add_f32 v[2:3], v[6:7], v[2:3] neg_lo:[0,1] neg_hi:[0,1]
	v_mov_b32_e32 v6, v9
	v_mov_b32_e32 v7, v2
	;; [unrolled: 1-line block ×3, first 2 shown]
	s_waitcnt vmcnt(0)
	v_pk_mul_f32 v[10:11], v[6:7], v[12:13] op_sel:[0,1]
	s_nop 0
	v_pk_add_f32 v[14:15], v[8:9], v[10:11] op_sel:[0,1] op_sel_hi:[1,0]
	v_mov_b32_e32 v9, v10
	v_mov_b32_e32 v2, v11
	v_pk_fma_f32 v[10:11], v[12:13], v[6:7], v[14:15] neg_lo:[1,0,0] neg_hi:[1,0,0]
	v_pk_fma_f32 v[14:15], v[12:13], v[6:7], v[14:15] op_sel_hi:[0,1,1]
	v_pk_add_f32 v[2:3], v[8:9], v[2:3] neg_lo:[0,1] neg_hi:[0,1]
	v_mov_b32_e32 v11, v15
	v_pk_fma_f32 v[2:3], v[12:13], v[6:7], v[2:3] op_sel_hi:[0,1,1]
	ds_write_b64 v82, v[10:11] offset:3168
	ds_write_b64 v4, v[2:3] offset:4224
	s_and_saveexec_b64 s[4:5], vcc
	s_cbranch_execz .LBB0_21
; %bb.20:
	global_load_dwordx2 v[0:1], v[0:1], off offset:3520
	ds_read_b64 v[2:3], v4 offset:3872
	ds_read_b64 v[6:7], v82 offset:3520
	s_waitcnt lgkmcnt(0)
	v_pk_add_f32 v[8:9], v[6:7], v[2:3]
	v_pk_add_f32 v[2:3], v[6:7], v[2:3] neg_lo:[0,1] neg_hi:[0,1]
	v_mov_b32_e32 v6, v9
	v_mov_b32_e32 v7, v2
	v_mov_b32_e32 v9, v3
	s_waitcnt vmcnt(0)
	v_pk_mul_f32 v[10:11], v[6:7], v[0:1] op_sel:[0,1]
	s_nop 0
	v_pk_add_f32 v[12:13], v[8:9], v[10:11] op_sel:[0,1] op_sel_hi:[1,0]
	v_mov_b32_e32 v9, v10
	v_mov_b32_e32 v2, v11
	v_pk_fma_f32 v[10:11], v[0:1], v[6:7], v[12:13] neg_lo:[1,0,0] neg_hi:[1,0,0]
	v_pk_fma_f32 v[12:13], v[0:1], v[6:7], v[12:13] op_sel_hi:[0,1,1]
	v_pk_add_f32 v[2:3], v[8:9], v[2:3] neg_lo:[0,1] neg_hi:[0,1]
	v_mov_b32_e32 v11, v13
	v_pk_fma_f32 v[0:1], v[0:1], v[6:7], v[2:3] op_sel_hi:[0,1,1]
	ds_write_b64 v82, v[10:11] offset:3520
	ds_write_b64 v4, v[0:1] offset:3872
.LBB0_21:
	s_or_b64 exec, exec, s[4:5]
	v_add_u32_e32 v0, 0x800, v82
	s_waitcnt lgkmcnt(0)
	; wave barrier
	s_waitcnt lgkmcnt(0)
	s_waitcnt lgkmcnt(0)
	; wave barrier
	s_waitcnt lgkmcnt(0)
	ds_read2_b64 v[6:9], v0 offset0:184 offset1:206
	ds_read2_b64 v[10:13], v82 offset1:44
	v_add_u32_e32 v4, 0x1800, v82
	ds_read2_b64 v[14:17], v4 offset0:90 offset1:134
	v_add_u32_e32 v1, 0xc00, v82
	v_lshl_add_u32 v5, v62, 3, v82
	s_waitcnt lgkmcnt(1)
	v_pk_add_f32 v[2:3], v[10:11], v[8:9] neg_lo:[0,1] neg_hi:[0,1]
	v_add_u32_e32 v63, 44, v62
	v_pk_fma_f32 v[38:39], v[10:11], 2.0, v[2:3] op_sel_hi:[1,0,1] neg_lo:[0,0,1] neg_hi:[0,0,1]
	ds_read2_b64 v[8:11], v1 offset0:122 offset1:166
	ds_read2_b64 v[18:21], v82 offset0:88 offset1:132
	v_add_u32_e32 v1, 0x1000, v82
	ds_read2_b64 v[22:25], v1 offset0:82 offset1:126
	ds_read2_b64 v[26:29], v82 offset0:176 offset1:220
	;; [unrolled: 1-line block ×6, first 2 shown]
	s_waitcnt lgkmcnt(0)
	; wave barrier
	s_waitcnt lgkmcnt(0)
	ds_write2_b64 v5, v[38:39], v[2:3] offset1:1
	v_pk_add_f32 v[42:43], v[6:7], v[16:17] neg_lo:[0,1] neg_hi:[0,1]
	v_pk_add_f32 v[2:3], v[12:13], v[8:9] neg_lo:[0,1] neg_hi:[0,1]
	v_add_u32_e32 v48, 0x58, v62
	v_pk_fma_f32 v[40:41], v[6:7], 2.0, v[42:43] op_sel_hi:[1,0,1] neg_lo:[0,0,1] neg_hi:[0,0,1]
	v_pk_fma_f32 v[6:7], v[12:13], 2.0, v[2:3] op_sel_hi:[1,0,1] neg_lo:[0,0,1] neg_hi:[0,0,1]
	v_pk_add_f32 v[8:9], v[18:19], v[10:11] neg_lo:[0,1] neg_hi:[0,1]
	v_lshl_add_u32 v5, v63, 4, 0
	v_pk_add_f32 v[12:13], v[26:27], v[24:25] neg_lo:[0,1] neg_hi:[0,1]
	v_add_u32_e32 v44, 0x84, v62
	v_add_u32_e32 v45, 0xb0, v62
	;; [unrolled: 1-line block ×8, first 2 shown]
	v_lshl_add_u32 v38, v48, 4, 0
	ds_write2_b64 v5, v[6:7], v[2:3] offset1:1
	v_pk_fma_f32 v[2:3], v[18:19], 2.0, v[8:9] op_sel_hi:[1,0,1] neg_lo:[0,0,1] neg_hi:[0,0,1]
	v_pk_add_f32 v[6:7], v[20:21], v[22:23] neg_lo:[0,1] neg_hi:[0,1]
	v_pk_fma_f32 v[16:17], v[26:27], 2.0, v[12:13] op_sel_hi:[1,0,1] neg_lo:[0,0,1] neg_hi:[0,0,1]
	v_pk_add_f32 v[18:19], v[28:29], v[30:31] neg_lo:[0,1] neg_hi:[0,1]
	v_pk_add_f32 v[22:23], v[34:35], v[32:33] neg_lo:[0,1] neg_hi:[0,1]
	;; [unrolled: 1-line block ×5, first 2 shown]
	v_lshl_add_u32 v5, v44, 4, 0
	v_pk_fma_f32 v[10:11], v[20:21], 2.0, v[6:7] op_sel_hi:[1,0,1] neg_lo:[0,0,1] neg_hi:[0,0,1]
	v_pk_fma_f32 v[20:21], v[28:29], 2.0, v[18:19] op_sel_hi:[1,0,1] neg_lo:[0,0,1] neg_hi:[0,0,1]
	;; [unrolled: 1-line block ×4, first 2 shown]
	v_lshl_add_u32 v36, v45, 4, 0
	v_lshl_add_u32 v37, v46, 4, 0
	v_lshl_add_u32 v39, v47, 4, 0
	v_lshl_add_u32 v52, v50, 4, 0
	v_pk_fma_f32 v[32:33], v[56:57], 2.0, v[30:31] op_sel_hi:[1,0,1] neg_lo:[0,0,1] neg_hi:[0,0,1]
	v_pk_fma_f32 v[34:35], v[58:59], 2.0, v[14:15] op_sel_hi:[1,0,1] neg_lo:[0,0,1] neg_hi:[0,0,1]
	v_lshl_add_u32 v53, v51, 4, 0
	v_lshl_add_u32 v54, v66, 4, 0
	ds_write2_b64 v38, v[2:3], v[8:9] offset1:1
	ds_write2_b64 v5, v[10:11], v[6:7] offset1:1
	;; [unrolled: 1-line block ×8, first 2 shown]
	s_and_saveexec_b64 s[4:5], vcc
	s_cbranch_execz .LBB0_23
; %bb.22:
	v_lshl_add_u32 v2, v49, 4, 0
	ds_write2_b64 v2, v[40:41], v[42:43] offset1:1
.LBB0_23:
	s_or_b64 exec, exec, s[4:5]
	s_waitcnt lgkmcnt(0)
	; wave barrier
	s_waitcnt lgkmcnt(0)
	ds_read2_b64 v[8:11], v82 offset1:44
	ds_read2_b64 v[24:27], v0 offset0:206 offset1:250
	ds_read2_b64 v[12:15], v82 offset0:88 offset1:132
	;; [unrolled: 1-line block ×6, first 2 shown]
	v_add_u32_e32 v1, 0x1400, v82
	ds_read2_b64 v[36:39], v1 offset0:86 offset1:130
	ds_read2_b64 v[0:3], v0 offset0:96 offset1:140
	;; [unrolled: 1-line block ×3, first 2 shown]
	v_lshlrev_b32_e32 v53, 1, v63
	v_lshlrev_b32_e32 v54, 1, v48
	;; [unrolled: 1-line block ×9, first 2 shown]
	s_and_saveexec_b64 s[4:5], vcc
	s_cbranch_execz .LBB0_25
; %bb.24:
	ds_read_b64 v[40:41], v82 offset:3520
	ds_read_b64 v[42:43], v82 offset:7216
.LBB0_25:
	s_or_b64 exec, exec, s[4:5]
	v_and_b32_e32 v51, 1, v62
	v_lshlrev_b32_e32 v66, 3, v51
	global_load_dwordx2 v[68:69], v66, s[8:9]
	s_movk_i32 s11, 0x1fc
	s_movk_i32 s10, 0x3fc
	;; [unrolled: 1-line block ×3, first 2 shown]
	v_and_or_b32 v54, v54, s11, v51
	v_and_or_b32 v55, v55, s11, v51
	;; [unrolled: 1-line block ×6, first 2 shown]
	v_lshl_add_u32 v84, v54, 3, 0
	v_lshl_add_u32 v85, v55, 3, 0
	;; [unrolled: 1-line block ×6, first 2 shown]
	v_lshlrev_b32_e32 v67, 1, v62
	s_movk_i32 s4, 0x7c
	s_movk_i32 s5, 0xfc
	v_and_or_b32 v67, v67, s4, v51
	v_and_or_b32 v53, v53, s5, v51
	v_lshl_add_u32 v83, v67, 3, 0
	s_waitcnt lgkmcnt(0)
	; wave barrier
	s_waitcnt lgkmcnt(0)
	v_lshl_add_u32 v53, v53, 3, 0
	v_mov_b32_e32 v66, v43
	s_waitcnt vmcnt(0)
	v_pk_mul_f32 v[54:55], v[68:69], v[24:25] op_sel:[0,1]
	v_pk_mul_f32 v[56:57], v[68:69], v[26:27] op_sel:[0,1]
	;; [unrolled: 1-line block ×8, first 2 shown]
	v_pk_fma_f32 v[80:81], v[68:69], v[24:25], v[54:55] op_sel:[0,0,1] op_sel_hi:[1,1,0]
	v_pk_fma_f32 v[24:25], v[68:69], v[24:25], v[54:55] op_sel:[0,0,1] op_sel_hi:[1,0,0] neg_lo:[1,0,0] neg_hi:[1,0,0]
	v_pk_fma_f32 v[54:55], v[68:69], v[26:27], v[56:57] op_sel:[0,0,1] op_sel_hi:[1,1,0]
	v_pk_fma_f32 v[26:27], v[68:69], v[26:27], v[56:57] op_sel:[0,0,1] op_sel_hi:[1,0,0] neg_lo:[1,0,0] neg_hi:[1,0,0]
	;; [unrolled: 2-line block ×8, first 2 shown]
	v_mov_b32_e32 v81, v25
	v_mov_b32_e32 v55, v27
	;; [unrolled: 1-line block ×8, first 2 shown]
	v_pk_add_f32 v[24:25], v[8:9], v[80:81] neg_lo:[0,1] neg_hi:[0,1]
	v_pk_add_f32 v[26:27], v[10:11], v[54:55] neg_lo:[0,1] neg_hi:[0,1]
	;; [unrolled: 1-line block ×8, first 2 shown]
	v_pk_fma_f32 v[8:9], v[8:9], 2.0, v[24:25] op_sel_hi:[1,0,1] neg_lo:[0,0,1] neg_hi:[0,0,1]
	v_pk_fma_f32 v[10:11], v[10:11], 2.0, v[26:27] op_sel_hi:[1,0,1] neg_lo:[0,0,1] neg_hi:[0,0,1]
	;; [unrolled: 1-line block ×8, first 2 shown]
	ds_write2_b64 v83, v[8:9], v[24:25] offset1:2
	ds_write2_b64 v53, v[10:11], v[26:27] offset1:2
	;; [unrolled: 1-line block ×8, first 2 shown]
	v_and_or_b32 v8, v52, s10, v51
	v_lshl_add_u32 v12, v8, 3, 0
	v_pk_mul_f32 v[8:9], v[68:69], v[4:5] op_sel:[0,1]
	v_pk_mul_f32 v[66:67], v[66:67], v[68:69] op_sel_hi:[0,1]
	v_pk_fma_f32 v[10:11], v[68:69], v[4:5], v[8:9] op_sel:[0,0,1] op_sel_hi:[1,1,0]
	v_pk_fma_f32 v[4:5], v[68:69], v[4:5], v[8:9] op_sel:[0,0,1] op_sel_hi:[1,0,0] neg_lo:[1,0,0] neg_hi:[1,0,0]
	v_pk_fma_f32 v[78:79], v[42:43], v[68:69], v[66:67] op_sel:[0,0,1] op_sel_hi:[1,1,0]
	v_mov_b32_e32 v11, v5
	v_pk_add_f32 v[4:5], v[0:1], v[10:11] neg_lo:[0,1] neg_hi:[0,1]
	v_pk_fma_f32 v[42:43], v[42:43], v[68:69], v[66:67] op_sel:[0,0,1] op_sel_hi:[0,1,0] neg_lo:[1,0,0] neg_hi:[1,0,0]
	v_pk_fma_f32 v[0:1], v[0:1], 2.0, v[4:5] op_sel_hi:[1,0,1] neg_lo:[0,0,1] neg_hi:[0,0,1]
	ds_write2_b64 v12, v[0:1], v[4:5] offset1:2
	v_and_or_b32 v0, v50, s10, v51
	v_lshl_add_u32 v8, v0, 3, 0
	v_pk_mul_f32 v[0:1], v[68:69], v[6:7] op_sel:[0,1]
	v_mov_b32_e32 v79, v43
	v_pk_fma_f32 v[4:5], v[68:69], v[6:7], v[0:1] op_sel:[0,0,1] op_sel_hi:[1,1,0]
	v_pk_fma_f32 v[0:1], v[68:69], v[6:7], v[0:1] op_sel:[0,0,1] op_sel_hi:[1,0,0] neg_lo:[1,0,0] neg_hi:[1,0,0]
	v_pk_add_f32 v[66:67], v[40:41], v[78:79] neg_lo:[0,1] neg_hi:[0,1]
	v_mov_b32_e32 v5, v1
	v_pk_add_f32 v[0:1], v[2:3], v[4:5] neg_lo:[0,1] neg_hi:[0,1]
	s_nop 0
	v_pk_fma_f32 v[2:3], v[2:3], 2.0, v[0:1] op_sel_hi:[1,0,1] neg_lo:[0,0,1] neg_hi:[0,0,1]
	ds_write2_b64 v8, v[2:3], v[0:1] offset1:2
	s_and_saveexec_b64 s[4:5], vcc
	s_cbranch_execz .LBB0_27
; %bb.26:
	v_lshlrev_b32_e32 v0, 1, v49
	v_and_or_b32 v0, v0, s10, v51
	v_lshl_add_u32 v2, v0, 3, 0
	v_pk_fma_f32 v[0:1], v[40:41], 2.0, v[66:67] op_sel_hi:[1,0,1] neg_lo:[0,0,1] neg_hi:[0,0,1]
	ds_write2_b64 v2, v[0:1], v[66:67] offset1:2
.LBB0_27:
	s_or_b64 exec, exec, s[4:5]
	v_and_b32_e32 v42, 3, v62
	v_lshlrev_b32_e32 v0, 4, v42
	s_waitcnt lgkmcnt(0)
	; wave barrier
	s_waitcnt lgkmcnt(0)
	global_load_dwordx4 v[8:11], v0, s[8:9] offset:16
	v_add_u32_e32 v84, 0x800, v82
	v_add_u32_e32 v83, 0x1000, v82
	v_lshrrev_b32_e32 v24, 2, v62
	v_lshrrev_b32_e32 v25, 2, v63
	;; [unrolled: 1-line block ×7, first 2 shown]
	ds_read_b64 v[40:41], v82 offset:7040
	ds_read2_b64 v[4:7], v82 offset0:176 offset1:220
	ds_read2_b64 v[12:15], v82 offset1:44
	ds_read2_b64 v[0:3], v84 offset0:8 offset1:52
	ds_read2_b64 v[16:19], v83 offset0:104 offset1:148
	;; [unrolled: 1-line block ×3, first 2 shown]
	v_add_u32_e32 v49, 0x1800, v82
	v_mul_u32_u24_e32 v43, 12, v24
	v_mul_u32_u24_e32 v44, 12, v25
	;; [unrolled: 1-line block ×7, first 2 shown]
	ds_read2_b64 v[24:27], v83 offset0:16 offset1:60
	ds_read2_b64 v[28:31], v49 offset0:24 offset1:68
	;; [unrolled: 1-line block ×4, first 2 shown]
	v_or_b32_e32 v43, v43, v42
	v_or_b32_e32 v44, v44, v42
	;; [unrolled: 1-line block ×7, first 2 shown]
	v_lshl_add_u32 v76, v43, 3, 0
	v_lshl_add_u32 v77, v44, 3, 0
	;; [unrolled: 1-line block ×7, first 2 shown]
	s_mov_b32 s4, 0x3f5db3d7
	s_movk_i32 s13, 0xab
	s_mov_b32 s12, 0xbeae86e6
	s_mov_b32 s15, s12
	;; [unrolled: 1-line block ×7, first 2 shown]
	v_mov_b32_e32 v101, 3
	s_mov_b32 s16, 0xbf5ff5aa
	s_mov_b32 s17, 0x3f3bfb3b
	;; [unrolled: 1-line block ×4, first 2 shown]
	v_cmp_gt_u32_e32 vcc, 40, v62
	s_waitcnt vmcnt(0) lgkmcnt(4)
	v_pk_mul_f32 v[42:43], v[8:9], v[20:21] op_sel:[0,1]
	v_pk_mul_f32 v[44:45], v[10:11], v[18:19] op_sel:[0,1]
	s_waitcnt lgkmcnt(3)
	v_pk_mul_f32 v[46:47], v[26:27], v[8:9] op_sel:[0,1]
	v_mov_b32_e32 v50, v11
	v_pk_mul_f32 v[52:53], v[24:25], v[8:9] op_sel:[0,1]
	s_waitcnt lgkmcnt(1)
	v_pk_mul_f32 v[54:55], v[34:35], v[8:9] op_sel:[0,1]
	v_pk_mul_f32 v[56:57], v[32:33], v[8:9] op_sel:[0,1]
	v_pk_mul_f32 v[58:59], v[22:23], v[8:9] op_sel:[0,1]
	v_pk_fma_f32 v[68:69], v[8:9], v[20:21], v[42:43] op_sel:[0,0,1] op_sel_hi:[1,1,0]
	v_pk_fma_f32 v[20:21], v[8:9], v[20:21], v[42:43] op_sel:[0,0,1] op_sel_hi:[1,0,0] neg_lo:[1,0,0] neg_hi:[1,0,0]
	v_pk_fma_f32 v[42:43], v[26:27], v[8:9], v[46:47] op_sel:[0,0,1] op_sel_hi:[1,1,0]
	v_pk_fma_f32 v[26:27], v[26:27], v[8:9], v[46:47] op_sel:[0,0,1] op_sel_hi:[1,0,0] neg_lo:[0,0,1] neg_hi:[0,0,1]
	;; [unrolled: 2-line block ×7, first 2 shown]
	v_pk_mul_f32 v[58:59], v[40:41], v[50:51] op_sel_hi:[1,0]
	v_pk_mul_f32 v[70:71], v[30:31], v[50:51] op_sel_hi:[1,0]
	v_mov_b32_e32 v69, v21
	v_mov_b32_e32 v57, v19
	v_pk_fma_f32 v[18:19], v[40:41], v[10:11], v[58:59] op_sel:[0,0,1] op_sel_hi:[1,1,0]
	v_pk_fma_f32 v[20:21], v[40:41], v[10:11], v[58:59] op_sel:[0,0,1] op_sel_hi:[1,0,0] neg_lo:[0,0,1] neg_hi:[0,0,1]
	v_mov_b32_e32 v43, v27
	v_pk_fma_f32 v[26:27], v[30:31], v[10:11], v[70:71] op_sel:[0,0,1] op_sel_hi:[1,1,0]
	v_pk_fma_f32 v[30:31], v[30:31], v[10:11], v[70:71] op_sel:[0,0,1] op_sel_hi:[1,0,0] neg_lo:[0,0,1] neg_hi:[0,0,1]
	v_mov_b32_e32 v19, v21
	s_waitcnt lgkmcnt(0)
	v_pk_mul_f32 v[20:21], v[36:37], v[50:51] op_sel_hi:[1,0]
	v_pk_mul_f32 v[72:73], v[28:29], v[50:51] op_sel_hi:[1,0]
	;; [unrolled: 1-line block ×3, first 2 shown]
	v_mov_b32_e32 v27, v31
	v_pk_fma_f32 v[30:31], v[36:37], v[10:11], v[20:21] op_sel:[0,0,1] op_sel_hi:[1,1,0]
	v_pk_fma_f32 v[20:21], v[36:37], v[10:11], v[20:21] op_sel:[0,0,1] op_sel_hi:[1,0,0] neg_lo:[0,0,1] neg_hi:[0,0,1]
	v_pk_mul_f32 v[36:37], v[10:11], v[16:17] op_sel:[0,1]
	v_pk_fma_f32 v[40:41], v[28:29], v[10:11], v[72:73] op_sel:[0,0,1] op_sel_hi:[1,1,0]
	v_pk_fma_f32 v[28:29], v[28:29], v[10:11], v[72:73] op_sel:[0,0,1] op_sel_hi:[1,0,0] neg_lo:[0,0,1] neg_hi:[0,0,1]
	v_mov_b32_e32 v47, v25
	v_pk_fma_f32 v[24:25], v[38:39], v[10:11], v[74:75] op_sel:[0,0,1] op_sel_hi:[1,1,0]
	v_pk_fma_f32 v[38:39], v[38:39], v[10:11], v[74:75] op_sel:[0,0,1] op_sel_hi:[1,0,0] neg_lo:[0,0,1] neg_hi:[0,0,1]
	v_pk_fma_f32 v[50:51], v[10:11], v[16:17], v[36:37] op_sel:[0,0,1] op_sel_hi:[1,1,0]
	v_pk_fma_f32 v[16:17], v[10:11], v[16:17], v[36:37] op_sel:[0,0,1] op_sel_hi:[1,0,0] neg_lo:[1,0,0] neg_hi:[1,0,0]
	v_pk_mul_f32 v[10:11], v[8:9], v[2:3] op_sel:[0,1]
	v_mov_b32_e32 v51, v17
	v_pk_fma_f32 v[36:37], v[8:9], v[2:3], v[10:11] op_sel:[0,0,1] op_sel_hi:[1,1,0]
	v_pk_fma_f32 v[2:3], v[8:9], v[2:3], v[10:11] op_sel:[0,0,1] op_sel_hi:[1,0,0] neg_lo:[1,0,0] neg_hi:[1,0,0]
	ds_read2_b64 v[8:11], v82 offset0:88 offset1:132
	v_mov_b32_e32 v37, v3
	v_pk_add_f32 v[16:17], v[36:37], v[50:51]
	v_pk_add_f32 v[2:3], v[12:13], v[36:37]
	v_pk_fma_f32 v[12:13], v[16:17], 0.5, v[12:13] op_sel_hi:[1,0,1] neg_lo:[1,0,0] neg_hi:[1,0,0]
	v_pk_add_f32 v[16:17], v[36:37], v[50:51] neg_lo:[0,1] neg_hi:[0,1]
	v_pk_add_f32 v[2:3], v[2:3], v[50:51]
	v_pk_mul_f32 v[16:17], v[16:17], s[4:5] op_sel_hi:[1,0]
	s_waitcnt lgkmcnt(0)
	v_pk_add_f32 v[36:37], v[12:13], v[16:17] op_sel:[0,1] op_sel_hi:[1,0] neg_lo:[0,1] neg_hi:[0,1]
	v_pk_add_f32 v[12:13], v[12:13], v[16:17] op_sel:[0,1] op_sel_hi:[1,0]
	v_mov_b32_e32 v16, v36
	v_mov_b32_e32 v17, v13
	;; [unrolled: 1-line block ×3, first 2 shown]
	; wave barrier
	ds_write2_b64 v76, v[2:3], v[16:17] offset1:4
	ds_write_b64 v76, v[12:13] offset:64
	v_pk_add_f32 v[2:3], v[68:69], v[56:57]
	v_pk_add_f32 v[12:13], v[68:69], v[56:57] neg_lo:[0,1] neg_hi:[0,1]
	v_pk_fma_f32 v[2:3], v[2:3], 0.5, v[14:15] op_sel_hi:[1,0,1] neg_lo:[1,0,0] neg_hi:[1,0,0]
	v_pk_mul_f32 v[12:13], v[12:13], s[4:5] op_sel_hi:[1,0]
	v_mov_b32_e32 v53, v35
	v_pk_add_f32 v[34:35], v[14:15], v[68:69]
	v_pk_add_f32 v[14:15], v[2:3], v[12:13] op_sel:[0,1] op_sel_hi:[1,0] neg_lo:[0,1] neg_hi:[0,1]
	v_pk_add_f32 v[2:3], v[2:3], v[12:13] op_sel:[0,1] op_sel_hi:[1,0]
	v_mov_b32_e32 v45, v23
	v_mov_b32_e32 v31, v21
	;; [unrolled: 1-line block ×4, first 2 shown]
	ds_write_b64 v77, v[2:3] offset:64
	v_pk_add_f32 v[2:3], v[44:45], v[30:31]
	v_pk_add_f32 v[20:21], v[8:9], v[44:45]
	v_pk_fma_f32 v[2:3], v[2:3], 0.5, v[8:9] op_sel_hi:[1,0,1] neg_lo:[1,0,0] neg_hi:[1,0,0]
	v_pk_add_f32 v[8:9], v[44:45], v[30:31] neg_lo:[0,1] neg_hi:[0,1]
	v_pk_add_f32 v[34:35], v[34:35], v[56:57]
	v_mov_b32_e32 v12, v14
	v_pk_mul_f32 v[8:9], v[8:9], s[4:5] op_sel_hi:[1,0]
	ds_write2_b64 v77, v[34:35], v[12:13] offset1:4
	v_pk_add_f32 v[12:13], v[2:3], v[8:9] op_sel:[0,1] op_sel_hi:[1,0] neg_lo:[0,1] neg_hi:[0,1]
	v_pk_add_f32 v[2:3], v[2:3], v[8:9] op_sel:[0,1] op_sel_hi:[1,0]
	v_mov_b32_e32 v55, v33
	v_mov_b32_e32 v25, v39
	v_pk_add_f32 v[20:21], v[20:21], v[30:31]
	v_mov_b32_e32 v8, v12
	v_mov_b32_e32 v9, v3
	;; [unrolled: 1-line block ×3, first 2 shown]
	ds_write2_b64 v78, v[20:21], v[8:9] offset1:4
	ds_write_b64 v78, v[2:3] offset:64
	v_pk_add_f32 v[2:3], v[54:55], v[24:25]
	v_pk_add_f32 v[8:9], v[54:55], v[24:25] neg_lo:[0,1] neg_hi:[0,1]
	v_pk_fma_f32 v[2:3], v[2:3], 0.5, v[10:11] op_sel_hi:[1,0,1] neg_lo:[1,0,0] neg_hi:[1,0,0]
	v_pk_mul_f32 v[8:9], v[8:9], s[4:5] op_sel_hi:[1,0]
	v_pk_add_f32 v[22:23], v[10:11], v[54:55]
	v_pk_add_f32 v[10:11], v[2:3], v[8:9] op_sel:[0,1] op_sel_hi:[1,0] neg_lo:[0,1] neg_hi:[0,1]
	v_pk_add_f32 v[2:3], v[2:3], v[8:9] op_sel:[0,1] op_sel_hi:[1,0]
	v_mov_b32_e32 v41, v29
	v_mov_b32_e32 v9, v3
	;; [unrolled: 1-line block ×3, first 2 shown]
	ds_write_b64 v79, v[2:3] offset:64
	v_pk_add_f32 v[2:3], v[52:53], v[40:41]
	v_pk_add_f32 v[38:39], v[4:5], v[52:53]
	v_pk_fma_f32 v[2:3], v[2:3], 0.5, v[4:5] op_sel_hi:[1,0,1] neg_lo:[1,0,0] neg_hi:[1,0,0]
	v_pk_add_f32 v[4:5], v[52:53], v[40:41] neg_lo:[0,1] neg_hi:[0,1]
	v_pk_add_f32 v[22:23], v[22:23], v[24:25]
	v_mov_b32_e32 v8, v10
	v_pk_mul_f32 v[4:5], v[4:5], s[4:5] op_sel_hi:[1,0]
	ds_write2_b64 v79, v[22:23], v[8:9] offset1:4
	v_pk_add_f32 v[8:9], v[2:3], v[4:5] op_sel:[0,1] op_sel_hi:[1,0] neg_lo:[0,1] neg_hi:[0,1]
	v_pk_add_f32 v[2:3], v[2:3], v[4:5] op_sel:[0,1] op_sel_hi:[1,0]
	v_pk_add_f32 v[38:39], v[38:39], v[40:41]
	v_mov_b32_e32 v4, v8
	v_mov_b32_e32 v5, v3
	;; [unrolled: 1-line block ×3, first 2 shown]
	ds_write2_b64 v80, v[38:39], v[4:5] offset1:4
	ds_write_b64 v80, v[2:3] offset:64
	v_pk_add_f32 v[2:3], v[46:47], v[26:27]
	v_pk_add_f32 v[4:5], v[46:47], v[26:27] neg_lo:[0,1] neg_hi:[0,1]
	v_pk_fma_f32 v[2:3], v[2:3], 0.5, v[6:7] op_sel_hi:[1,0,1] neg_lo:[1,0,0] neg_hi:[1,0,0]
	v_pk_mul_f32 v[4:5], v[4:5], s[4:5] op_sel_hi:[1,0]
	v_pk_add_f32 v[32:33], v[6:7], v[46:47]
	v_pk_add_f32 v[6:7], v[2:3], v[4:5] op_sel:[0,1] op_sel_hi:[1,0] neg_lo:[0,1] neg_hi:[0,1]
	v_pk_add_f32 v[2:3], v[2:3], v[4:5] op_sel:[0,1] op_sel_hi:[1,0]
	v_pk_add_f32 v[28:29], v[0:1], v[42:43]
	v_mov_b32_e32 v5, v3
	v_mov_b32_e32 v3, v7
	ds_write_b64 v81, v[2:3] offset:64
	v_pk_add_f32 v[2:3], v[42:43], v[18:19]
	v_pk_add_f32 v[32:33], v[32:33], v[26:27]
	v_pk_fma_f32 v[0:1], v[2:3], 0.5, v[0:1] op_sel_hi:[1,0,1] neg_lo:[1,0,0] neg_hi:[1,0,0]
	v_pk_add_f32 v[2:3], v[42:43], v[18:19] neg_lo:[0,1] neg_hi:[0,1]
	v_mov_b32_e32 v4, v6
	v_pk_mul_f32 v[2:3], v[2:3], s[4:5] op_sel_hi:[1,0]
	ds_write2_b64 v81, v[32:33], v[4:5] offset1:4
	v_pk_add_f32 v[4:5], v[0:1], v[2:3] op_sel:[0,1] op_sel_hi:[1,0] neg_lo:[0,1] neg_hi:[0,1]
	v_pk_add_f32 v[0:1], v[0:1], v[2:3] op_sel:[0,1] op_sel_hi:[1,0]
	v_mov_b32_e32 v58, 6
	v_mov_b32_e32 v3, v1
	;; [unrolled: 1-line block ×3, first 2 shown]
	ds_write_b64 v85, v[0:1] offset:64
	v_mul_lo_u16_sdwa v0, v62, s13 dst_sel:DWORD dst_unused:UNUSED_PAD src0_sel:BYTE_0 src1_sel:DWORD
	v_lshrrev_b16_e32 v56, 11, v0
	v_mul_lo_u16_e32 v0, 12, v56
	v_sub_u16_e32 v57, v62, v0
	v_mul_u32_u24_sdwa v0, v57, v58 dst_sel:DWORD dst_unused:UNUSED_PAD src0_sel:BYTE_0 src1_sel:DWORD
	v_pk_add_f32 v[28:29], v[28:29], v[18:19]
	v_mov_b32_e32 v2, v4
	v_lshlrev_b32_e32 v0, 3, v0
	ds_write2_b64 v85, v[28:29], v[2:3] offset1:4
	s_waitcnt lgkmcnt(0)
	; wave barrier
	s_waitcnt lgkmcnt(0)
	global_load_dwordx4 v[50:53], v0, s[8:9] offset:96
	global_load_dwordx4 v[36:39], v0, s[8:9] offset:80
	;; [unrolled: 1-line block ×3, first 2 shown]
	ds_read2_b64 v[0:3], v82 offset1:44
	ds_read2_b64 v[6:9], v82 offset0:88 offset1:132
	ds_read2_b64 v[26:29], v84 offset0:96 offset1:140
	;; [unrolled: 1-line block ×6, first 2 shown]
	s_mov_b32 s5, 0x3f08b237
	s_mov_b32 s14, s5
	;; [unrolled: 1-line block ×3, first 2 shown]
	s_waitcnt vmcnt(2) lgkmcnt(2)
	v_mul_f32_e32 v5, v53, v10
	s_waitcnt vmcnt(1)
	v_pk_mul_f32 v[54:55], v[36:37], v[8:9] op_sel_hi:[1,0]
	v_mul_f32_e32 v44, v52, v10
	v_fma_f32 v10, v52, v11, -v5
	v_mov_b32_e32 v52, v9
	v_pk_fma_f32 v[8:9], v[36:37], v[8:9], v[54:55] op_sel:[0,1,1] op_sel_hi:[1,1,0]
	v_mul_f32_e32 v46, v53, v11
	v_pk_fma_f32 v[52:53], v[36:37], v[52:53], v[54:55] op_sel:[0,0,1] op_sel_hi:[1,1,0] neg_lo:[0,0,1] neg_hi:[0,0,1]
	v_mov_b32_e32 v8, v23
	v_pk_mul_f32 v[36:37], v[38:39], v[22:23] op_sel_hi:[1,0]
	v_mov_b32_e32 v53, v9
	v_pk_fma_f32 v[8:9], v[38:39], v[8:9], v[36:37] op_sel:[0,0,1] op_sel_hi:[1,1,0] neg_lo:[0,0,1] neg_hi:[0,0,1]
	v_pk_fma_f32 v[22:23], v[38:39], v[22:23], v[36:37] op_sel:[0,1,1] op_sel_hi:[1,1,0]
	s_waitcnt vmcnt(0) lgkmcnt(1)
	v_pk_mul_f32 v[36:37], v[16:17], v[32:33] op_sel_hi:[0,1]
	v_mul_lo_u16_sdwa v5, v63, s13 dst_sel:DWORD dst_unused:UNUSED_PAD src0_sel:BYTE_0 src1_sel:DWORD
	v_mov_b32_e32 v22, v17
	v_pk_fma_f32 v[16:17], v[16:17], v[32:33], v[36:37] op_sel:[1,0,1] op_sel_hi:[1,1,0]
	v_lshrrev_b16_e32 v49, 11, v5
	v_mov_b32_e32 v9, v23
	v_pk_fma_f32 v[22:23], v[22:23], v[32:33], v[36:37] op_sel:[0,0,1] op_sel_hi:[1,1,0] neg_lo:[0,0,1] neg_hi:[0,0,1]
	s_waitcnt lgkmcnt(0)
	v_mov_b32_e32 v16, v19
	v_pk_mul_f32 v[32:33], v[18:19], v[34:35] op_sel_hi:[0,1]
	v_mul_f32_e32 v4, v51, v28
	v_mul_lo_u16_e32 v5, 12, v49
	v_mov_b32_e32 v23, v17
	v_pk_fma_f32 v[16:17], v[16:17], v[34:35], v[32:33] op_sel:[0,0,1] op_sel_hi:[1,1,0] neg_lo:[0,0,1] neg_hi:[0,0,1]
	v_mul_f32_e32 v40, v50, v28
	v_mul_f32_e32 v42, v51, v29
	v_fma_f32 v4, v50, v29, -v4
	v_sub_u16_e32 v50, v63, v5
	v_mov_b32_e32 v45, v52
	v_mov_b32_e32 v47, v16
	;; [unrolled: 1-line block ×4, first 2 shown]
	v_mul_u32_u24_sdwa v5, v50, v58 dst_sel:DWORD dst_unused:UNUSED_PAD src0_sel:BYTE_0 src1_sel:DWORD
	v_pk_add_f32 v[72:73], v[8:9], v[22:23]
	v_pk_add_f32 v[74:75], v[8:9], v[22:23] neg_lo:[0,1] neg_hi:[0,1]
	v_pk_add_f32 v[76:77], v[44:45], v[46:47]
	v_pk_add_f32 v[22:23], v[40:41], v[42:43]
	v_lshlrev_b32_e32 v51, 3, v5
	v_pk_fma_f32 v[18:19], v[18:19], v[34:35], v[32:33] op_sel:[1,0,1] op_sel_hi:[1,1,0]
	v_mov_b32_e32 v11, v76
	v_mov_b32_e32 v5, v22
	;; [unrolled: 1-line block ×3, first 2 shown]
	v_pk_add_f32 v[8:9], v[10:11], v[4:5] neg_lo:[0,1] neg_hi:[0,1]
	v_mul_lo_u16_sdwa v5, v48, s13 dst_sel:DWORD dst_unused:UNUSED_PAD src0_sel:BYTE_0 src1_sel:DWORD
	v_pk_add_f32 v[70:71], v[52:53], v[16:17] neg_lo:[0,1] neg_hi:[0,1]
	v_lshrrev_b16_e32 v85, 11, v5
	v_pk_add_f32 v[68:69], v[52:53], v[16:17]
	v_mov_b32_e32 v16, v8
	v_mov_b32_e32 v17, v71
	;; [unrolled: 1-line block ×4, first 2 shown]
	v_mul_lo_u16_e32 v5, 12, v85
	v_pk_add_f32 v[16:17], v[16:17], v[18:19] neg_lo:[0,1] neg_hi:[0,1]
	v_sub_u16_e32 v100, v48, v5
	v_pk_mul_f32 v[78:79], v[16:17], s[14:15]
	v_mov_b32_e32 v17, v9
	v_mov_b32_e32 v18, v8
	v_pk_add_f32 v[8:9], v[8:9], v[74:75]
	v_mul_u32_u24_sdwa v5, v100, v58 dst_sel:DWORD dst_unused:UNUSED_PAD src0_sel:BYTE_0 src1_sel:DWORD
	v_pk_add_f32 v[86:87], v[8:9], v[70:71]
	v_lshlrev_b32_e32 v44, 3, v5
	v_mov_b32_e32 v8, v73
	v_mov_b32_e32 v9, v4
	;; [unrolled: 1-line block ×6, first 2 shown]
	v_pk_add_f32 v[4:5], v[8:9], v[4:5]
	v_pk_add_f32 v[36:37], v[22:23], v[76:77]
	global_load_dwordx4 v[28:31], v51, s[8:9] offset:80
	v_pk_add_f32 v[80:81], v[16:17], v[18:19] neg_lo:[0,1] neg_hi:[0,1]
	global_load_dwordx4 v[16:19], v44, s[8:9] offset:80
	v_mov_b32_e32 v76, v36
	v_mov_b32_e32 v9, v5
	v_pk_add_f32 v[38:39], v[76:77], v[8:9] neg_lo:[0,1] neg_hi:[0,1]
	v_mov_b32_e32 v40, v69
	v_mov_b32_e32 v41, v5
	;; [unrolled: 1-line block ×3, first 2 shown]
	v_pk_add_f32 v[4:5], v[4:5], v[36:37]
	s_mov_b32 s14, s12
	s_mov_b32 s15, s5
	v_pk_add_f32 v[88:89], v[40:41], v[22:23] neg_lo:[0,1] neg_hi:[0,1]
	v_pk_add_f32 v[0:1], v[4:5], v[0:1]
	v_pk_mul_f32 v[90:91], v[38:39], s[10:11]
	v_pk_fma_f32 v[4:5], v[4:5], s[18:19], v[0:1] op_sel_hi:[1,0,1] neg_lo:[1,0,0] neg_hi:[1,0,0]
	v_pk_fma_f32 v[36:37], v[88:89], s[20:21], v[90:91]
	v_pk_fma_f32 v[38:39], v[80:81], s[14:15], v[78:79]
	global_load_dwordx4 v[32:35], v51, s[8:9] offset:112
	global_load_dwordx4 v[8:11], v51, s[8:9] offset:96
	v_pk_add_f32 v[40:41], v[36:37], v[4:5]
	v_pk_fma_f32 v[42:43], v[86:87], s[4:5], v[38:39] op_sel_hi:[1,0,1]
	v_mul_u32_u24_e32 v22, 0x2a0, v56
	v_pk_add_f32 v[92:93], v[40:41], v[42:43]
	v_pk_add_f32 v[94:95], v[40:41], v[42:43] neg_lo:[0,1] neg_hi:[0,1]
	v_lshlrev_b32_sdwa v40, v101, v57 dst_sel:DWORD dst_unused:UNUSED_PAD src0_sel:DWORD src1_sel:BYTE_0
	global_load_dwordx4 v[36:39], v44, s[8:9] offset:96
	v_add3_u32 v51, 0, v22, v40
	global_load_dwordx4 v[40:43], v44, s[8:9] offset:112
	v_mov_b32_e32 v98, v92
	v_mov_b32_e32 v99, v95
	ds_read_b64 v[96:97], v82 offset:7040
	ds_read2_b64 v[44:47], v82 offset0:176 offset1:220
	ds_read2_b64 v[52:55], v84 offset0:184 offset1:228
	;; [unrolled: 1-line block ×3, first 2 shown]
	s_waitcnt lgkmcnt(0)
	; wave barrier
	s_waitcnt lgkmcnt(0)
	ds_write2_b64 v51, v[0:1], v[98:99] offset1:12
	v_pk_add_f32 v[0:1], v[74:75], v[70:71] neg_lo:[0,1] neg_hi:[0,1]
	v_mov_b32_e32 v22, v73
	v_mov_b32_e32 v76, v69
	v_pk_mul_f32 v[68:69], v[80:81], s[14:15]
	v_pk_mul_f32 v[70:71], v[88:89], s[20:21]
	v_pk_add_f32 v[22:23], v[22:23], v[76:77] neg_lo:[0,1] neg_hi:[0,1]
	s_mov_b32 s14, s17
	v_mov_b32_e32 v72, v70
	v_mov_b32_e32 v73, v91
	;; [unrolled: 1-line block ×6, first 2 shown]
	v_pk_fma_f32 v[72:73], v[22:23], s[14:15], v[72:73] op_sel_hi:[1,0,1] neg_lo:[1,0,1] neg_hi:[1,0,1]
	v_pk_fma_f32 v[74:75], v[0:1], s[16:17], v[74:75] op_sel_hi:[1,0,1] neg_lo:[1,0,1] neg_hi:[1,0,1]
	v_pk_fma_f32 v[22:23], v[22:23], s[14:15], v[90:91] op_sel_hi:[1,0,1] neg_lo:[0,0,1] neg_hi:[0,0,1]
	v_pk_fma_f32 v[0:1], v[0:1], s[16:17], v[78:79] op_sel_hi:[1,0,1] neg_lo:[0,0,1] neg_hi:[0,0,1]
	v_pk_add_f32 v[72:73], v[72:73], v[4:5]
	v_pk_fma_f32 v[74:75], v[86:87], s[4:5], v[74:75] op_sel_hi:[1,0,1]
	v_pk_add_f32 v[4:5], v[22:23], v[4:5]
	v_pk_fma_f32 v[0:1], v[86:87], s[4:5], v[0:1] op_sel_hi:[1,0,1]
	v_pk_add_f32 v[76:77], v[72:73], v[74:75]
	v_pk_add_f32 v[72:73], v[72:73], v[74:75] neg_lo:[0,1] neg_hi:[0,1]
	v_pk_add_f32 v[22:23], v[4:5], v[0:1] neg_lo:[0,1] neg_hi:[0,1]
	v_pk_add_f32 v[0:1], v[4:5], v[0:1]
	v_mov_b32_e32 v5, v73
	v_mov_b32_e32 v69, v1
	v_mov_b32_e32 v1, v23
	v_mov_b32_e32 v73, v77
	ds_write2_b64 v51, v[0:1], v[72:73] offset0:48 offset1:60
	v_mov_b32_e32 v4, v76
	v_mov_b32_e32 v68, v22
	ds_write2_b64 v51, v[4:5], v[68:69] offset0:24 offset1:36
	s_mov_b32 s13, s11
	s_mov_b32 s20, s5
	v_mov_b32_e32 v95, v93
	ds_write_b64 v51, v[94:95] offset:576
	s_waitcnt vmcnt(5)
	v_mov_b32_e32 v22, v29
	v_pk_mul_f32 v[22:23], v[44:45], v[22:23] op_sel:[1,0] op_sel_hi:[0,1]
	s_waitcnt vmcnt(4)
	v_mov_b32_e32 v0, v19
	v_pk_mul_f32 v[0:1], v[26:27], v[0:1] op_sel:[1,0] op_sel_hi:[0,1]
	v_pk_fma_f32 v[0:1], v[26:27], v[18:19], v[0:1]
	v_pk_mul_f32 v[4:5], v[26:27], v[18:19] op_sel:[1,0] op_sel_hi:[0,1]
	v_mov_b32_e32 v18, v17
	v_pk_mul_f32 v[18:19], v[46:47], v[18:19] op_sel:[1,0] op_sel_hi:[0,1]
	v_pk_fma_f32 v[18:19], v[46:47], v[16:17], v[18:19]
	v_pk_mul_f32 v[16:17], v[46:47], v[16:17] op_sel:[1,0] op_sel_hi:[0,1]
	v_pk_fma_f32 v[22:23], v[44:45], v[28:29], v[22:23]
	v_pk_mul_f32 v[26:27], v[44:45], v[28:29] op_sel:[1,0] op_sel_hi:[0,1]
	v_mov_b32_e32 v28, v24
	v_mov_b32_e32 v29, v52
	;; [unrolled: 1-line block ×3, first 2 shown]
	s_waitcnt vmcnt(2)
	v_pk_mul_f32 v[44:45], v[52:53], v[8:9] op_sel:[1,0] op_sel_hi:[0,1]
	v_mov_b32_e32 v52, v25
	v_pk_mul_f32 v[24:25], v[24:25], v[30:31] op_sel:[1,0] op_sel_hi:[0,1]
	v_mov_b32_e32 v30, v35
	v_mov_b32_e32 v47, v8
	;; [unrolled: 1-line block ×3, first 2 shown]
	v_pk_mul_f32 v[30:31], v[20:21], v[30:31] op_sel:[1,0] op_sel_hi:[0,1]
	v_pk_fma_f32 v[30:31], v[20:21], v[34:35], v[30:31]
	v_pk_mul_f32 v[20:21], v[20:21], v[34:35] op_sel:[1,0] op_sel_hi:[0,1]
	s_waitcnt vmcnt(0)
	v_mov_b32_e32 v68, v41
	v_mov_b32_e32 v70, v43
	;; [unrolled: 1-line block ×6, first 2 shown]
	v_pk_mul_f32 v[68:69], v[58:59], v[68:69] op_sel:[1,0] op_sel_hi:[0,1]
	v_pk_mul_f32 v[70:71], v[96:97], v[70:71] op_sel:[1,0] op_sel_hi:[0,1]
	v_pk_add_f32 v[20:21], v[34:35], v[20:21] neg_lo:[0,1] neg_hi:[0,1]
	v_pk_mul_f32 v[26:27], v[14:15], v[26:27] op_sel:[1,0] op_sel_hi:[0,1]
	v_pk_mul_f32 v[34:35], v[14:15], v[38:39]
	v_pk_fma_f32 v[68:69], v[58:59], v[40:41], v[68:69]
	v_pk_fma_f32 v[70:71], v[96:97], v[42:43], v[70:71]
	v_pk_mul_f32 v[40:41], v[58:59], v[40:41] op_sel:[1,0] op_sel_hi:[0,1]
	v_mov_b32_e32 v48, v37
	v_mov_b32_e32 v58, v4
	;; [unrolled: 1-line block ×6, first 2 shown]
	v_pk_mul_f32 v[14:15], v[14:15], v[38:39] op_sel:[1,0] op_sel_hi:[0,1]
	v_pk_mul_f32 v[38:39], v[54:55], v[36:37]
	v_pk_add_f32 v[4:5], v[58:59], v[40:41] neg_lo:[0,1] neg_hi:[0,1]
	v_pk_mul_f32 v[40:41], v[12:13], v[10:11] op_sel:[1,0] op_sel_hi:[0,1]
	v_pk_add_f32 v[26:27], v[34:35], v[26:27]
	v_pk_mul_f32 v[34:35], v[54:55], v[48:49] op_sel:[1,0] op_sel_hi:[0,1]
	v_pk_mul_f32 v[36:37], v[54:55], v[36:37] op_sel:[1,0] op_sel_hi:[0,1]
	;; [unrolled: 1-line block ×3, first 2 shown]
	v_mov_b32_e32 v58, v40
	v_mov_b32_e32 v59, v24
	;; [unrolled: 1-line block ×3, first 2 shown]
	v_pk_mul_f32 v[40:41], v[56:57], v[32:33] op_sel:[1,0] op_sel_hi:[0,1]
	v_mov_b32_e32 v39, v0
	v_mov_b32_e32 v35, v68
	v_pk_add_f32 v[24:25], v[58:59], v[24:25] neg_lo:[0,1] neg_hi:[0,1]
	v_mov_b32_e32 v58, v44
	v_mov_b32_e32 v59, v40
	;; [unrolled: 1-line block ×3, first 2 shown]
	v_pk_add_f32 v[34:35], v[38:39], v[34:35]
	v_mov_b32_e32 v38, v36
	v_mov_b32_e32 v39, v16
	;; [unrolled: 1-line block ×6, first 2 shown]
	v_pk_add_f32 v[40:41], v[58:59], v[40:41] neg_lo:[0,1] neg_hi:[0,1]
	v_pk_add_f32 v[16:17], v[38:39], v[16:17] neg_lo:[0,1] neg_hi:[0,1]
	;; [unrolled: 1-line block ×3, first 2 shown]
	v_pk_mul_f32 v[8:9], v[52:53], v[8:9]
	v_pk_add_f32 v[44:45], v[24:25], v[40:41]
	v_pk_add_f32 v[24:25], v[24:25], v[40:41] neg_lo:[0,1] neg_hi:[0,1]
	v_mov_b32_e32 v40, v5
	v_pk_fma_f32 v[8:9], v[28:29], v[46:47], v[8:9]
	v_pk_add_f32 v[28:29], v[16:17], v[14:15]
	v_mov_b32_e32 v36, v14
	v_mov_b32_e32 v37, v17
	;; [unrolled: 1-line block ×5, first 2 shown]
	v_pk_add_f32 v[58:59], v[4:5], v[40:41]
	v_pk_add_f32 v[4:5], v[4:5], v[40:41] neg_lo:[0,1] neg_hi:[0,1]
	v_pk_add_f32 v[16:17], v[36:37], v[16:17] neg_lo:[0,1] neg_hi:[0,1]
	;; [unrolled: 1-line block ×3, first 2 shown]
	v_pk_add_f32 v[14:15], v[34:35], v[26:27]
	v_pk_add_f32 v[0:1], v[0:1], v[68:69] neg_lo:[0,1] neg_hi:[0,1]
	v_add_f32_e32 v5, v16, v4
	v_mov_b32_e32 v26, v19
	v_add_f32_e32 v31, v5, v17
	v_pk_add_f32 v[38:39], v[26:27], v[0:1]
	v_sub_f32_e32 v5, v0, v18
	v_mov_b32_e32 v59, v28
	v_mov_b32_e32 v1, v0
	;; [unrolled: 1-line block ×3, first 2 shown]
	v_mul_f32_e32 v34, 0xbf5ff5aa, v5
	v_mov_b32_e32 v5, v35
	v_mov_b32_e32 v42, v16
	;; [unrolled: 1-line block ×4, first 2 shown]
	v_pk_add_f32 v[36:37], v[28:29], v[58:59] neg_lo:[0,1] neg_hi:[0,1]
	v_pk_add_f32 v[38:39], v[18:19], v[38:39]
	v_pk_add_f32 v[0:1], v[18:19], v[0:1] neg_lo:[0,1] neg_hi:[0,1]
	v_pk_add_f32 v[16:17], v[42:43], v[4:5] neg_lo:[0,1] neg_hi:[0,1]
	v_pk_add_f32 v[42:43], v[26:27], v[42:43] neg_lo:[0,1] neg_hi:[0,1]
	v_pk_add_f32 v[4:5], v[4:5], v[26:27] neg_lo:[0,1] neg_hi:[0,1]
	v_mov_b32_e32 v26, v18
	v_mov_b32_e32 v27, v58
	;; [unrolled: 1-line block ×4, first 2 shown]
	v_pk_mul_f32 v[36:37], v[36:37], s[10:11]
	v_mov_b32_e32 v39, v1
	v_pk_add_f32 v[18:19], v[26:27], v[18:19] neg_lo:[0,1] neg_hi:[0,1]
	v_pk_mul_f32 v[38:39], v[38:39], s[4:5]
	v_pk_mul_f32 v[26:27], v[18:19], s[22:23]
	v_mov_b32_e32 v35, v37
	v_mov_b32_e32 v40, v39
	;; [unrolled: 1-line block ×3, first 2 shown]
	v_pk_mul_f32 v[42:43], v[42:43], s[12:13]
	v_pk_fma_f32 v[18:19], v[18:19], s[22:23], v[34:35] neg_lo:[1,0,1] neg_hi:[1,0,1]
	v_mov_b32_e32 v35, v27
	v_mov_b32_e32 v27, v37
	v_pk_mul_f32 v[4:5], v[4:5], s[16:17]
	v_pk_fma_f32 v[36:37], v[16:17], s[20:21], v[42:43]
	v_pk_add_f32 v[34:35], v[34:35], v[40:41] neg_lo:[0,1] neg_hi:[0,1]
	v_pk_add_f32 v[26:27], v[40:41], v[26:27]
	v_mov_b32_e32 v40, v4
	v_mov_b32_e32 v41, v43
	;; [unrolled: 1-line block ×6, first 2 shown]
	v_pk_add_f32 v[40:41], v[40:41], v[42:43] neg_lo:[1,1] neg_hi:[1,1]
	v_mov_b32_e32 v43, v10
	v_mov_b32_e32 v10, v33
	v_mov_b32_e32 v0, v56
	v_pk_add_f32 v[52:53], v[22:23], v[28:29]
	v_mul_u32_u24_e32 v23, 0x2a0, v49
	v_lshlrev_b32_sdwa v29, v101, v50 dst_sel:DWORD dst_unused:UNUSED_PAD src0_sel:DWORD src1_sel:BYTE_0
	v_mov_b32_e32 v42, v32
	v_pk_mul_f32 v[10:11], v[12:13], v[10:11]
	v_mul_f32_e32 v48, 0xbee1c552, v31
	v_add3_u32 v29, 0, v23, v29
	v_mov_b32_e32 v23, v20
	v_mov_b32_e32 v31, v21
	v_pk_fma_f32 v[0:1], v[0:1], v[42:43], v[10:11]
	v_pk_add_f32 v[32:33], v[22:23], v[30:31]
	v_pk_add_f32 v[10:11], v[8:9], v[0:1]
	v_mov_b32_e32 v51, v32
	v_mov_b32_e32 v50, v11
	;; [unrolled: 1-line block ×8, first 2 shown]
	v_pk_add_f32 v[50:51], v[50:51], v[10:11] neg_lo:[0,1] neg_hi:[0,1]
	v_pk_add_f32 v[56:57], v[54:55], v[32:33]
	v_mov_b32_e32 v10, v11
	v_mov_b32_e32 v11, v44
	v_pk_add_f32 v[0:1], v[12:13], v[8:9] neg_lo:[0,1] neg_hi:[0,1]
	v_mov_b32_e32 v9, v44
	v_mov_b32_e32 v13, v45
	v_pk_add_f32 v[10:11], v[10:11], v[56:57]
	v_pk_mul_f32 v[44:45], v[50:51], s[10:11]
	v_pk_fma_f32 v[16:17], v[16:17], s[20:21], v[4:5] neg_lo:[1,0,0] neg_hi:[1,0,0]
	v_mov_b32_e32 v4, v25
	v_pk_add_f32 v[56:57], v[10:11], v[2:3]
	v_mov_b32_e32 v2, v45
	v_pk_add_f32 v[4:5], v[24:25], v[4:5]
	v_pk_fma_f32 v[2:3], v[50:51], s[10:11], v[2:3]
	v_mov_b32_e32 v50, v20
	v_mov_b32_e32 v51, v22
	;; [unrolled: 1-line block ×6, first 2 shown]
	v_pk_add_f32 v[20:21], v[50:51], v[20:21] neg_lo:[0,1] neg_hi:[0,1]
	v_mov_b32_e32 v8, v0
	v_pk_add_f32 v[4:5], v[20:21], v[4:5]
	v_pk_add_f32 v[30:31], v[20:21], v[46:47] op_sel_hi:[0,1] neg_lo:[0,1] neg_hi:[0,1]
	v_add_f32_e32 v0, v0, v1
	v_mov_b32_e32 v5, v31
	s_mov_b32 s5, s12
	v_pk_add_f32 v[46:47], v[54:55], v[32:33] neg_lo:[0,1] neg_hi:[0,1]
	v_pk_fma_f32 v[10:11], v[10:11], s[18:19], v[56:57] op_sel_hi:[1,0,1] neg_lo:[1,0,0] neg_hi:[1,0,0]
	v_mov_b32_e32 v32, v21
	v_sub_f32_e32 v39, v24, v25
	v_mov_b32_e32 v12, v1
	v_add_f32_e32 v0, v0, v21
	v_pk_mul_f32 v[30:31], v[4:5], s[4:5]
	v_pk_add_f32 v[50:51], v[2:3], v[10:11]
	v_pk_add_f32 v[2:3], v[32:33], v[8:9] neg_lo:[0,1] neg_hi:[0,1]
	v_pk_add_f32 v[12:13], v[8:9], v[12:13] neg_lo:[0,1] neg_hi:[0,1]
	v_mul_f32_e32 v22, 0xbee1c552, v0
	v_mov_b32_e32 v0, v25
	v_fmamk_f32 v4, v39, 0x3f08b237, v31
	v_pk_mul_f32 v[2:3], v[2:3], s[12:13]
	v_pk_mul_f32 v[42:43], v[12:13], s[20:21]
	v_pk_add_f32 v[0:1], v[0:1], v[20:21] neg_lo:[0,1] neg_hi:[0,1]
	v_add_f32_e32 v20, v30, v4
	v_mov_b32_e32 v4, v45
	v_mov_b32_e32 v5, v3
	v_pk_fma_f32 v[8:9], v[12:13], s[20:21], v[2:3]
	v_mov_b32_e32 v12, v31
	v_mov_b32_e32 v13, v2
	v_pk_fma_f32 v[4:5], v[46:47], s[14:15], v[4:5] op_sel_hi:[1,0,1] neg_lo:[1,0,1] neg_hi:[1,0,1]
	v_pk_fma_f32 v[2:3], v[0:1], s[16:17], v[12:13] op_sel_hi:[1,0,1] neg_lo:[1,0,1] neg_hi:[1,0,1]
	v_mov_b32_e32 v23, v11
	v_mov_b32_e32 v31, v22
	v_pk_add_f32 v[4:5], v[4:5], v[10:11]
	v_pk_add_f32 v[8:9], v[22:23], v[8:9]
	;; [unrolled: 1-line block ×3, first 2 shown]
	v_mul_f32_e32 v24, 0x3f08b237, v39
	v_pk_add_f32 v[2:3], v[4:5], v[12:13]
	v_pk_add_f32 v[68:69], v[4:5], v[12:13] neg_lo:[0,1] neg_hi:[0,1]
	v_mov_b32_e32 v13, v8
	v_mov_b32_e32 v25, v42
	;; [unrolled: 1-line block ×5, first 2 shown]
	v_pk_add_f32 v[8:9], v[8:9], v[12:13] neg_lo:[0,1] neg_hi:[0,1]
	v_pk_fma_f32 v[0:1], v[0:1], s[16:17], v[24:25] op_sel_hi:[1,0,1] neg_lo:[0,0,1] neg_hi:[0,0,1]
	v_pk_fma_f32 v[12:13], v[46:47], s[14:15], v[44:45] op_sel_hi:[1,0,1] neg_lo:[0,0,1] neg_hi:[0,0,1]
	v_pk_add_f32 v[4:5], v[20:21], v[50:51]
	v_pk_add_f32 v[0:1], v[30:31], v[0:1]
	;; [unrolled: 1-line block ×3, first 2 shown]
	v_mov_b32_e32 v8, v4
	v_pk_add_f32 v[78:79], v[10:11], v[0:1] neg_lo:[0,1] neg_hi:[0,1]
	v_pk_add_f32 v[0:1], v[10:11], v[0:1]
	ds_write2_b64 v29, v[56:57], v[8:9] offset1:12
	v_mov_b32_e32 v8, v2
	v_mov_b32_e32 v9, v69
	;; [unrolled: 1-line block ×4, first 2 shown]
	ds_write2_b64 v29, v[8:9], v[10:11] offset0:24 offset1:36
	v_mov_b32_e32 v8, v14
	v_mov_b32_e32 v9, v28
	;; [unrolled: 1-line block ×3, first 2 shown]
	v_pk_add_f32 v[8:9], v[8:9], v[52:53]
	v_mov_b32_e32 v1, v79
	v_pk_add_f32 v[6:7], v[8:9], v[6:7]
	v_mov_b32_e32 v69, v3
	v_fmamk_f32 v49, v8, 0xbf955555, v6
	v_fmamk_f32 v39, v9, 0xbf955555, v7
	v_pk_add_f32 v[8:9], v[48:49], v[36:37]
	v_pk_add_f32 v[10:11], v[48:49], v[16:17]
	;; [unrolled: 1-line block ×6, first 2 shown]
	v_pk_add_f32 v[70:71], v[50:51], v[20:21] neg_lo:[0,1] neg_hi:[0,1]
	v_mov_b32_e32 v20, v8
	v_mov_b32_e32 v21, v13
	v_mov_b32_e32 v22, v9
	v_mov_b32_e32 v23, v12
	v_mov_b32_e32 v24, v18
	v_mov_b32_e32 v25, v15
	v_mov_b32_e32 v18, v19
	v_mov_b32_e32 v19, v14
	v_mov_b32_e32 v26, v11
	v_mov_b32_e32 v27, v16
	v_mov_b32_e32 v11, v17
	ds_write2_b64 v29, v[0:1], v[68:69] offset0:48 offset1:60
	v_mul_u32_u24_e32 v1, 0x2a0, v85
	v_lshlrev_b32_sdwa v2, v101, v100 dst_sel:DWORD dst_unused:UNUSED_PAD src0_sel:DWORD src1_sel:BYTE_0
	v_pk_add_f32 v[72:73], v[20:21], v[22:23]
	v_pk_add_f32 v[12:13], v[20:21], v[22:23] neg_lo:[0,1] neg_hi:[0,1]
	v_pk_add_f32 v[74:75], v[24:25], v[18:19]
	v_pk_add_f32 v[14:15], v[24:25], v[18:19] neg_lo:[0,1] neg_hi:[0,1]
	v_pk_add_f32 v[8:9], v[26:27], v[10:11] neg_lo:[0,1] neg_hi:[0,1]
	v_pk_add_f32 v[76:77], v[26:27], v[10:11]
	v_pk_add_f32 v[10:11], v[10:11], v[26:27] neg_lo:[0,1] neg_hi:[0,1]
	v_pk_add_f32 v[16:17], v[18:19], v[24:25] neg_lo:[0,1] neg_hi:[0,1]
	v_pk_add_f32 v[18:19], v[22:23], v[20:21] neg_lo:[0,1] neg_hi:[0,1]
	v_mov_b32_e32 v71, v5
	v_add3_u32 v1, 0, v1, v2
	v_mov_b32_e32 v12, v72
	v_mov_b32_e32 v14, v74
	;; [unrolled: 1-line block ×6, first 2 shown]
	v_add_u32_e32 v69, 0xc00, v82
	ds_write_b64 v29, v[70:71] offset:576
	ds_write2_b64 v1, v[6:7], v[12:13] offset1:12
	ds_write2_b64 v1, v[14:15], v[8:9] offset0:24 offset1:36
	ds_write2_b64 v1, v[10:11], v[16:17] offset0:48 offset1:60
	ds_write_b64 v1, v[18:19] offset:576
	s_waitcnt lgkmcnt(0)
	; wave barrier
	s_waitcnt lgkmcnt(0)
	ds_read2_b64 v[20:23], v82 offset1:84
	ds_read2_b64 v[36:39], v82 offset0:168 offset1:252
	ds_read2_b64 v[28:31], v84 offset0:80 offset1:164
	;; [unrolled: 1-line block ×4, first 2 shown]
	ds_read_b64 v[80:81], v82 offset:6720
	s_and_saveexec_b64 s[4:5], vcc
	s_cbranch_execz .LBB0_29
; %bb.28:
	v_add_u32_e32 v4, 0x400, v82
	ds_read2_b64 v[0:3], v82 offset0:44 offset1:128
	ds_read2_b64 v[4:7], v4 offset0:84 offset1:168
	;; [unrolled: 1-line block ×4, first 2 shown]
	v_add_u32_e32 v16, 0x1400, v82
	ds_read2_b64 v[16:19], v16 offset0:76 offset1:160
	ds_read_b64 v[66:67], v82 offset:7072
	s_waitcnt lgkmcnt(4)
	v_mov_b32_e32 v70, v4
	v_mov_b32_e32 v68, v2
	s_waitcnt lgkmcnt(3)
	v_mov_b32_e32 v72, v12
	v_mov_b32_e32 v74, v14
	s_waitcnt lgkmcnt(2)
	v_mov_b32_e32 v76, v10
	s_waitcnt lgkmcnt(1)
	v_mov_b32_e32 v73, v19
	v_mov_b32_e32 v75, v17
	;; [unrolled: 1-line block ×4, first 2 shown]
.LBB0_29:
	s_or_b64 exec, exec, s[4:5]
	v_mul_u32_u24_e32 v1, 10, v62
	v_lshlrev_b32_e32 v1, 3, v1
	global_load_dwordx4 v[40:43], v1, s[8:9] offset:656
	global_load_dwordx4 v[56:59], v1, s[8:9] offset:672
	;; [unrolled: 1-line block ×5, first 2 shown]
	s_waitcnt lgkmcnt(4)
	v_mov_b32_e32 v2, v37
	s_mov_b32 s16, 0xbf4178ce
	s_mov_b32 s14, 0xbf27a4f4
	;; [unrolled: 1-line block ×12, first 2 shown]
	s_waitcnt lgkmcnt(0)
	; wave barrier
	s_waitcnt lgkmcnt(0)
	s_mov_b32 s36, 0xbf68dda4
	s_mov_b32 s38, 0x3e903f40
	s_waitcnt vmcnt(4)
	v_mov_b32_e32 v86, v43
	v_mov_b32_e32 v87, v42
	v_pk_mul_f32 v[42:43], v[42:43], v[36:37] op_sel_hi:[1,0]
	s_waitcnt vmcnt(3)
	v_pk_mul_f32 v[88:89], v[56:57], v[38:39] op_sel:[0,1]
	v_pk_mul_f32 v[90:91], v[58:59], v[28:29] op_sel:[0,1]
	s_waitcnt vmcnt(2)
	v_pk_mul_f32 v[92:93], v[52:53], v[30:31] op_sel:[0,1]
	v_pk_mul_f32 v[94:95], v[54:55], v[32:33] op_sel:[0,1]
	;; [unrolled: 3-line block ×3, first 2 shown]
	s_waitcnt vmcnt(0)
	v_pk_mul_f32 v[100:101], v[26:27], v[44:45] op_sel:[0,1]
	v_mov_b32_e32 v4, v47
	v_pk_mul_f32 v[102:103], v[40:41], v[22:23] op_sel:[0,1]
	v_pk_fma_f32 v[104:105], v[86:87], v[2:3], v[42:43]
	v_pk_fma_f32 v[36:37], v[86:87], v[36:37], v[42:43] op_sel:[0,1,0] neg_lo:[0,0,1] neg_hi:[0,0,1]
	v_pk_fma_f32 v[42:43], v[56:57], v[38:39], v[88:89] op_sel:[0,0,1] op_sel_hi:[1,1,0]
	v_pk_fma_f32 v[38:39], v[56:57], v[38:39], v[88:89] op_sel:[0,0,1] op_sel_hi:[1,0,0] neg_lo:[1,0,0] neg_hi:[1,0,0]
	v_pk_fma_f32 v[56:57], v[58:59], v[28:29], v[90:91] op_sel:[0,0,1] op_sel_hi:[1,1,0]
	v_pk_fma_f32 v[28:29], v[58:59], v[28:29], v[90:91] op_sel:[0,0,1] op_sel_hi:[1,0,0] neg_lo:[1,0,0] neg_hi:[1,0,0]
	;; [unrolled: 2-line block ×7, first 2 shown]
	v_pk_mul_f32 v[44:45], v[80:81], v[4:5] op_sel_hi:[1,0]
	v_pk_fma_f32 v[86:87], v[40:41], v[22:23], v[102:103] op_sel:[0,0,1] op_sel_hi:[1,1,0]
	v_pk_fma_f32 v[22:23], v[40:41], v[22:23], v[102:103] op_sel:[0,0,1] op_sel_hi:[1,0,0] neg_lo:[1,0,0] neg_hi:[1,0,0]
	v_mov_b32_e32 v49, v25
	v_mov_b32_e32 v51, v27
	v_pk_fma_f32 v[24:25], v[80:81], v[46:47], v[44:45] op_sel:[0,0,1] op_sel_hi:[1,1,0]
	v_pk_fma_f32 v[26:27], v[80:81], v[46:47], v[44:45] op_sel:[0,0,1] op_sel_hi:[1,0,0] neg_lo:[0,0,1] neg_hi:[0,0,1]
	v_mov_b32_e32 v87, v23
	v_mov_b32_e32 v25, v27
	;; [unrolled: 1-line block ×3, first 2 shown]
	v_pk_add_f32 v[44:45], v[86:87], v[24:25] neg_lo:[0,1] neg_hi:[0,1]
	v_mov_b32_e32 v43, v39
	v_pk_add_f32 v[26:27], v[104:105], v[50:51] neg_lo:[0,1] neg_hi:[0,1]
	v_pk_add_f32 v[40:41], v[86:87], v[24:25]
	v_pk_mul_f32 v[90:91], v[44:45], s[16:17] op_sel_hi:[1,0]
	v_mov_b32_e32 v57, v29
	v_mov_b32_e32 v59, v31
	;; [unrolled: 1-line block ×3, first 2 shown]
	v_pk_add_f32 v[22:23], v[104:105], v[50:51]
	v_pk_add_f32 v[30:31], v[42:43], v[48:49] neg_lo:[0,1] neg_hi:[0,1]
	v_pk_mul_f32 v[46:47], v[26:27], s[28:29] op_sel_hi:[1,0]
	v_pk_fma_f32 v[98:99], v[40:41], s[14:15], v[90:91] op_sel:[0,0,1] op_sel_hi:[1,0,0]
	v_pk_fma_f32 v[90:91], v[40:41], s[14:15], v[90:91] op_sel:[0,0,1] op_sel_hi:[1,0,0] neg_lo:[0,0,1] neg_hi:[0,0,1]
	v_pk_add_f32 v[28:29], v[42:43], v[48:49]
	v_pk_add_f32 v[34:35], v[56:57], v[54:55] neg_lo:[0,1] neg_hi:[0,1]
	v_pk_mul_f32 v[80:81], v[30:31], s[18:19] op_sel_hi:[1,0]
	v_pk_fma_f32 v[92:93], v[22:23], s[12:13], v[46:47] op_sel:[0,0,1] op_sel_hi:[1,0,0]
	v_pk_fma_f32 v[46:47], v[22:23], s[12:13], v[46:47] op_sel:[0,0,1] op_sel_hi:[1,0,0] neg_lo:[0,0,1] neg_hi:[0,0,1]
	v_mov_b32_e32 v106, v98
	v_mov_b32_e32 v107, v91
	;; [unrolled: 1-line block ×3, first 2 shown]
	v_pk_add_f32 v[32:33], v[56:57], v[54:55]
	v_pk_mul_f32 v[88:89], v[34:35], s[22:23] op_sel_hi:[1,0]
	v_pk_fma_f32 v[94:95], v[28:29], s[4:5], v[80:81] op_sel:[0,0,1] op_sel_hi:[1,0,0]
	v_pk_fma_f32 v[80:81], v[28:29], s[4:5], v[80:81] op_sel:[0,0,1] op_sel_hi:[1,0,0] neg_lo:[0,0,1] neg_hi:[0,0,1]
	v_mov_b32_e32 v100, v92
	v_mov_b32_e32 v101, v47
	v_pk_add_f32 v[106:107], v[106:107], v[20:21]
	v_pk_fma_f32 v[96:97], v[32:33], s[20:21], v[88:89] op_sel:[0,0,1] op_sel_hi:[1,0,0]
	v_pk_fma_f32 v[88:89], v[32:33], s[20:21], v[88:89] op_sel:[0,0,1] op_sel_hi:[1,0,0] neg_lo:[0,0,1] neg_hi:[0,0,1]
	v_mov_b32_e32 v102, v94
	v_mov_b32_e32 v103, v81
	v_pk_add_f32 v[100:101], v[100:101], v[106:107]
	v_pk_add_f32 v[38:39], v[58:59], v[52:53] neg_lo:[0,1] neg_hi:[0,1]
	v_pk_add_f32 v[100:101], v[102:103], v[100:101]
	v_mov_b32_e32 v102, v96
	v_mov_b32_e32 v103, v89
	v_pk_add_f32 v[36:37], v[58:59], v[52:53]
	v_pk_add_f32 v[100:101], v[102:103], v[100:101]
	v_pk_mul_f32 v[102:103], v[38:39], s[26:27] op_sel_hi:[1,0]
	v_pk_mul_f32 v[114:115], v[26:27], s[24:25] op_sel_hi:[1,0]
	v_pk_fma_f32 v[106:107], v[36:37], s[10:11], v[102:103] op_sel:[0,0,1] op_sel_hi:[1,0,0]
	v_pk_fma_f32 v[102:103], v[36:37], s[10:11], v[102:103] op_sel:[0,0,1] op_sel_hi:[1,0,0] neg_lo:[0,0,1] neg_hi:[0,0,1]
	v_mov_b32_e32 v108, v106
	v_mov_b32_e32 v109, v103
	v_pk_add_f32 v[100:101], v[108:109], v[100:101]
	v_pk_mul_f32 v[108:109], v[44:45], s[22:23] op_sel_hi:[1,0]
	v_pk_fma_f32 v[116:117], v[22:23], s[4:5], v[114:115] op_sel:[0,0,1] op_sel_hi:[1,0,0]
	v_pk_fma_f32 v[110:111], v[40:41], s[20:21], v[108:109] op_sel:[0,0,1] op_sel_hi:[1,0,0]
	v_pk_fma_f32 v[108:109], v[40:41], s[20:21], v[108:109] op_sel:[0,0,1] op_sel_hi:[1,0,0] neg_lo:[0,0,1] neg_hi:[0,0,1]
	v_mov_b32_e32 v112, v110
	v_mov_b32_e32 v113, v109
	v_pk_fma_f32 v[114:115], v[22:23], s[4:5], v[114:115] op_sel:[0,0,1] op_sel_hi:[1,0,0] neg_lo:[0,0,1] neg_hi:[0,0,1]
	v_pk_add_f32 v[112:113], v[112:113], v[20:21]
	v_mov_b32_e32 v118, v116
	v_mov_b32_e32 v119, v115
	v_pk_add_f32 v[112:113], v[118:119], v[112:113]
	v_pk_mul_f32 v[118:119], v[30:31], s[16:17] op_sel_hi:[1,0]
	v_mov_b32_e32 v109, v111
	v_pk_fma_f32 v[120:121], v[28:29], s[14:15], v[118:119] op_sel:[0,0,1] op_sel_hi:[1,0,0]
	v_pk_fma_f32 v[118:119], v[28:29], s[14:15], v[118:119] op_sel:[0,0,1] op_sel_hi:[1,0,0] neg_lo:[0,0,1] neg_hi:[0,0,1]
	v_mov_b32_e32 v122, v120
	v_mov_b32_e32 v123, v119
	v_pk_add_f32 v[112:113], v[122:123], v[112:113]
	v_pk_mul_f32 v[122:123], v[34:35], s[26:27] op_sel_hi:[1,0]
	v_mov_b32_e32 v91, v99
	v_pk_fma_f32 v[124:125], v[32:33], s[10:11], v[122:123] op_sel:[0,0,1] op_sel_hi:[1,0,0]
	v_pk_fma_f32 v[122:123], v[32:33], s[10:11], v[122:123] op_sel:[0,0,1] op_sel_hi:[1,0,0] neg_lo:[0,0,1] neg_hi:[0,0,1]
	;; [unrolled: 7-line block ×3, first 2 shown]
	v_mov_b32_e32 v130, v128
	v_mov_b32_e32 v131, v127
	v_pk_add_f32 v[112:113], v[130:131], v[112:113]
	ds_write2_b64 v84, v[100:101], v[112:113] offset0:80 offset1:164
	v_pk_add_f32 v[84:85], v[86:87], v[20:21]
	v_pk_mul_f32 v[130:131], v[26:27], s[16:17] op_sel_hi:[1,0]
	v_pk_add_f32 v[84:85], v[84:85], v[104:105]
	v_pk_fma_f32 v[132:133], v[22:23], s[14:15], v[130:131] op_sel:[0,0,1] op_sel_hi:[1,0,0]
	v_pk_add_f32 v[42:43], v[84:85], v[42:43]
	v_pk_fma_f32 v[130:131], v[22:23], s[14:15], v[130:131] op_sel:[0,0,1] op_sel_hi:[1,0,0] neg_lo:[0,0,1] neg_hi:[0,0,1]
	v_pk_add_f32 v[42:43], v[42:43], v[56:57]
	v_pk_mul_f32 v[56:57], v[26:27], s[36:37] op_sel_hi:[1,0]
	v_pk_add_f32 v[42:43], v[42:43], v[58:59]
	v_pk_mul_f32 v[58:59], v[44:45], s[18:19] op_sel_hi:[1,0]
	v_pk_add_f32 v[42:43], v[42:43], v[52:53]
	v_pk_fma_f32 v[52:53], v[22:23], s[10:11], v[56:57] op_sel:[0,0,1] op_sel_hi:[1,0,0]
	v_pk_add_f32 v[42:43], v[42:43], v[54:55]
	v_pk_fma_f32 v[54:55], v[40:41], s[4:5], v[58:59] op_sel:[0,0,1] op_sel_hi:[1,0,0]
	v_pk_fma_f32 v[58:59], v[40:41], s[4:5], v[58:59] op_sel:[0,0,1] op_sel_hi:[1,0,0] neg_lo:[0,0,1] neg_hi:[0,0,1]
	v_pk_fma_f32 v[56:57], v[22:23], s[10:11], v[56:57] op_sel:[0,0,1] op_sel_hi:[1,0,0] neg_lo:[0,0,1] neg_hi:[0,0,1]
	v_mov_b32_e32 v86, v54
	v_mov_b32_e32 v87, v59
	v_pk_add_f32 v[42:43], v[42:43], v[48:49]
	v_mov_b32_e32 v84, v52
	v_mov_b32_e32 v85, v57
	v_pk_add_f32 v[86:87], v[86:87], v[20:21]
	v_pk_mul_f32 v[48:49], v[30:31], s[30:31] op_sel_hi:[1,0]
	v_pk_add_f32 v[42:43], v[42:43], v[50:51]
	v_pk_add_f32 v[84:85], v[84:85], v[86:87]
	v_pk_fma_f32 v[86:87], v[28:29], s[12:13], v[48:49] op_sel:[0,0,1] op_sel_hi:[1,0,0]
	v_pk_fma_f32 v[48:49], v[28:29], s[12:13], v[48:49] op_sel:[0,0,1] op_sel_hi:[1,0,0] neg_lo:[0,0,1] neg_hi:[0,0,1]
	v_pk_add_f32 v[24:25], v[42:43], v[24:25]
	v_pk_mul_f32 v[42:43], v[34:35], s[16:17] op_sel_hi:[1,0]
	v_mov_b32_e32 v100, v86
	v_mov_b32_e32 v101, v49
	v_pk_fma_f32 v[50:51], v[32:33], s[14:15], v[42:43] op_sel:[0,0,1] op_sel_hi:[1,0,0]
	v_pk_fma_f32 v[42:43], v[32:33], s[14:15], v[42:43] op_sel:[0,0,1] op_sel_hi:[1,0,0] neg_lo:[0,0,1] neg_hi:[0,0,1]
	v_pk_add_f32 v[84:85], v[100:101], v[84:85]
	v_mov_b32_e32 v100, v50
	v_mov_b32_e32 v101, v43
	v_pk_add_f32 v[84:85], v[100:101], v[84:85]
	v_pk_mul_f32 v[100:101], v[38:39], s[22:23] op_sel_hi:[1,0]
	v_mov_b32_e32 v134, v132
	v_pk_fma_f32 v[104:105], v[36:37], s[20:21], v[100:101] op_sel:[0,0,1] op_sel_hi:[1,0,0]
	v_pk_fma_f32 v[100:101], v[36:37], s[20:21], v[100:101] op_sel:[0,0,1] op_sel_hi:[1,0,0] neg_lo:[0,0,1] neg_hi:[0,0,1]
	v_mov_b32_e32 v112, v104
	v_mov_b32_e32 v113, v101
	v_pk_add_f32 v[84:85], v[112:113], v[84:85]
	ds_write2_b64 v82, v[24:25], v[84:85] offset1:84
	v_pk_mul_f32 v[24:25], v[44:45], s[36:37] op_sel_hi:[1,0]
	v_mov_b32_e32 v135, v131
	v_pk_fma_f32 v[84:85], v[40:41], s[10:11], v[24:25] op_sel:[0,0,1] op_sel_hi:[1,0,0]
	v_pk_fma_f32 v[24:25], v[40:41], s[10:11], v[24:25] op_sel:[0,0,1] op_sel_hi:[1,0,0] neg_lo:[0,0,1] neg_hi:[0,0,1]
	v_mov_b32_e32 v112, v84
	v_mov_b32_e32 v113, v25
	v_pk_add_f32 v[112:113], v[112:113], v[20:21]
	v_pk_mul_f32 v[44:45], v[44:45], s[30:31] op_sel_hi:[1,0]
	v_pk_add_f32 v[112:113], v[134:135], v[112:113]
	v_pk_mul_f32 v[134:135], v[30:31], s[38:39] op_sel_hi:[1,0]
	v_pk_mul_f32 v[26:27], v[26:27], s[38:39] op_sel_hi:[1,0]
	v_pk_fma_f32 v[136:137], v[28:29], s[20:21], v[134:135] op_sel:[0,0,1] op_sel_hi:[1,0,0]
	v_pk_fma_f32 v[134:135], v[28:29], s[20:21], v[134:135] op_sel:[0,0,1] op_sel_hi:[1,0,0] neg_lo:[0,0,1] neg_hi:[0,0,1]
	v_mov_b32_e32 v138, v136
	v_mov_b32_e32 v139, v135
	v_pk_add_f32 v[112:113], v[138:139], v[112:113]
	v_pk_mul_f32 v[138:139], v[34:35], s[28:29] op_sel_hi:[1,0]
	v_pk_mul_f32 v[30:31], v[30:31], s[26:27] op_sel_hi:[1,0]
	v_pk_fma_f32 v[140:141], v[32:33], s[12:13], v[138:139] op_sel:[0,0,1] op_sel_hi:[1,0,0]
	v_pk_fma_f32 v[138:139], v[32:33], s[12:13], v[138:139] op_sel:[0,0,1] op_sel_hi:[1,0,0] neg_lo:[0,0,1] neg_hi:[0,0,1]
	v_mov_b32_e32 v142, v140
	v_mov_b32_e32 v143, v139
	v_pk_add_f32 v[112:113], v[142:143], v[112:113]
	v_pk_mul_f32 v[142:143], v[38:39], s[24:25] op_sel_hi:[1,0]
	v_mov_b32_e32 v47, v93
	v_pk_fma_f32 v[144:145], v[36:37], s[4:5], v[142:143] op_sel:[0,0,1] op_sel_hi:[1,0,0]
	v_pk_fma_f32 v[142:143], v[36:37], s[4:5], v[142:143] op_sel:[0,0,1] op_sel_hi:[1,0,0] neg_lo:[0,0,1] neg_hi:[0,0,1]
	v_mov_b32_e32 v146, v144
	v_mov_b32_e32 v147, v143
	v_pk_add_f32 v[112:113], v[146:147], v[112:113]
	v_pk_fma_f32 v[146:147], v[40:41], s[12:13], v[44:45] op_sel:[0,0,1] op_sel_hi:[1,0,0]
	v_pk_fma_f32 v[40:41], v[40:41], s[12:13], v[44:45] op_sel:[0,0,1] op_sel_hi:[1,0,0] neg_lo:[0,0,1] neg_hi:[0,0,1]
	v_pk_fma_f32 v[44:45], v[22:23], s[20:21], v[26:27] op_sel:[0,0,1] op_sel_hi:[1,0,0]
	v_pk_fma_f32 v[22:23], v[22:23], s[20:21], v[26:27] op_sel:[0,0,1] op_sel_hi:[1,0,0] neg_lo:[0,0,1] neg_hi:[0,0,1]
	v_mov_b32_e32 v26, v146
	v_mov_b32_e32 v27, v41
	v_pk_add_f32 v[26:27], v[26:27], v[20:21]
	v_mov_b32_e32 v148, v44
	v_mov_b32_e32 v149, v23
	v_pk_add_f32 v[26:27], v[148:149], v[26:27]
	v_pk_fma_f32 v[148:149], v[28:29], s[10:11], v[30:31] op_sel:[0,0,1] op_sel_hi:[1,0,0]
	v_pk_fma_f32 v[28:29], v[28:29], s[10:11], v[30:31] op_sel:[0,0,1] op_sel_hi:[1,0,0] neg_lo:[0,0,1] neg_hi:[0,0,1]
	v_mov_b32_e32 v30, v148
	v_mov_b32_e32 v31, v29
	v_pk_add_f32 v[26:27], v[30:31], v[26:27]
	v_pk_mul_f32 v[30:31], v[34:35], s[18:19] op_sel_hi:[1,0]
	v_mov_b32_e32 v119, v121
	v_pk_fma_f32 v[34:35], v[32:33], s[4:5], v[30:31] op_sel:[0,0,1] op_sel_hi:[1,0,0]
	v_pk_fma_f32 v[30:31], v[32:33], s[4:5], v[30:31] op_sel:[0,0,1] op_sel_hi:[1,0,0] neg_lo:[0,0,1] neg_hi:[0,0,1]
	v_mov_b32_e32 v32, v34
	v_mov_b32_e32 v33, v31
	v_pk_add_f32 v[26:27], v[32:33], v[26:27]
	v_pk_mul_f32 v[32:33], v[38:39], s[16:17] op_sel_hi:[1,0]
	v_mov_b32_e32 v81, v95
	v_pk_fma_f32 v[38:39], v[36:37], s[14:15], v[32:33] op_sel:[0,0,1] op_sel_hi:[1,0,0]
	v_pk_fma_f32 v[32:33], v[36:37], s[14:15], v[32:33] op_sel:[0,0,1] op_sel_hi:[1,0,0] neg_lo:[0,0,1] neg_hi:[0,0,1]
	v_mov_b32_e32 v36, v38
	v_mov_b32_e32 v37, v33
	v_pk_add_f32 v[26:27], v[36:37], v[26:27]
	ds_write2_b64 v82, v[112:113], v[26:27] offset0:168 offset1:252
	v_pk_add_f32 v[26:27], v[108:109], v[20:21]
	v_pk_add_f32 v[36:37], v[90:91], v[20:21]
	;; [unrolled: 1-line block ×5, first 2 shown]
	v_mov_b32_e32 v123, v125
	v_pk_add_f32 v[36:37], v[80:81], v[36:37]
	v_mov_b32_e32 v89, v97
	v_pk_add_f32 v[26:27], v[122:123], v[26:27]
	;; [unrolled: 2-line block ×4, first 2 shown]
	v_pk_add_f32 v[36:37], v[102:103], v[36:37]
	v_mov_b32_e32 v41, v147
	v_mov_b32_e32 v25, v85
	;; [unrolled: 1-line block ×3, first 2 shown]
	ds_write2_b64 v69, v[26:27], v[36:37] offset0:120 offset1:204
	v_pk_add_f32 v[26:27], v[40:41], v[20:21]
	v_mov_b32_e32 v23, v45
	v_pk_add_f32 v[24:25], v[24:25], v[20:21]
	v_mov_b32_e32 v131, v133
	;; [unrolled: 2-line block ×12, first 2 shown]
	v_pk_add_f32 v[22:23], v[32:33], v[22:23]
	v_pk_add_f32 v[24:25], v[142:143], v[24:25]
	;; [unrolled: 1-line block ×3, first 2 shown]
	ds_write2_b64 v83, v[22:23], v[24:25] offset0:160 offset1:244
	ds_write_b64 v82, v[20:21] offset:6720
	s_and_saveexec_b64 s[34:35], vcc
	s_cbranch_execz .LBB0_31
; %bb.30:
	v_subrev_u32_e32 v1, 40, v62
	v_cndmask_b32_e32 v1, v1, v63, vcc
	v_mul_i32_i24_e32 v20, 10, v1
	v_mov_b32_e32 v21, 0
	v_lshl_add_u64 v[40:41], v[20:21], 3, s[8:9]
	global_load_dwordx4 v[20:23], v[40:41], off offset:656
	global_load_dwordx4 v[24:27], v[40:41], off offset:720
	global_load_dwordx4 v[28:31], v[40:41], off offset:672
	global_load_dwordx4 v[32:35], v[40:41], off offset:704
	global_load_dwordx4 v[36:39], v[40:41], off offset:688
	v_mov_b32_e32 v2, v3
	v_mov_b32_e32 v4, v67
	;; [unrolled: 1-line block ×11, first 2 shown]
	s_waitcnt vmcnt(4)
	v_pk_mul_f32 v[2:3], v[2:3], v[20:21] op_sel_hi:[0,1]
	s_waitcnt vmcnt(3)
	v_pk_mul_f32 v[4:5], v[4:5], v[26:27] op_sel_hi:[0,1]
	v_pk_mul_f32 v[10:11], v[10:11], v[22:23] op_sel_hi:[0,1]
	;; [unrolled: 1-line block ×3, first 2 shown]
	s_waitcnt vmcnt(1)
	v_pk_mul_f32 v[40:41], v[40:41], v[34:35] op_sel_hi:[0,1]
	v_pk_fma_f32 v[50:51], v[66:67], v[26:27], v[4:5] op_sel:[0,0,1] op_sel_hi:[1,1,0]
	v_pk_fma_f32 v[4:5], v[66:67], v[26:27], v[4:5] op_sel:[0,0,1] op_sel_hi:[0,1,0] neg_lo:[1,0,0] neg_hi:[1,0,0]
	v_pk_fma_f32 v[26:27], v[18:19], v[24:25], v[12:13] op_sel:[0,0,1] op_sel_hi:[1,1,0]
	v_pk_fma_f32 v[12:13], v[18:19], v[24:25], v[12:13] op_sel:[0,0,1] op_sel_hi:[0,1,0] neg_lo:[1,0,0] neg_hi:[1,0,0]
	;; [unrolled: 2-line block ×5, first 2 shown]
	v_pk_mul_f32 v[14:15], v[14:15], v[28:29] op_sel_hi:[0,1]
	s_waitcnt vmcnt(0)
	v_pk_mul_f32 v[48:49], v[48:49], v[38:39] op_sel_hi:[0,1]
	v_mov_b32_e32 v51, v5
	v_mov_b32_e32 v41, v3
	v_pk_mul_f32 v[42:43], v[42:43], v[30:31] op_sel_hi:[0,1]
	v_pk_mul_f32 v[44:45], v[44:45], v[32:33] op_sel_hi:[0,1]
	;; [unrolled: 1-line block ×3, first 2 shown]
	v_pk_fma_f32 v[24:25], v[6:7], v[28:29], v[14:15] op_sel:[0,0,1] op_sel_hi:[1,1,0]
	v_pk_fma_f32 v[6:7], v[6:7], v[28:29], v[14:15] op_sel:[0,0,1] op_sel_hi:[0,1,0] neg_lo:[1,0,0] neg_hi:[1,0,0]
	v_pk_fma_f32 v[34:35], v[8:9], v[38:39], v[48:49] op_sel:[0,0,1] op_sel_hi:[1,1,0]
	v_pk_fma_f32 v[8:9], v[8:9], v[38:39], v[48:49] op_sel:[0,0,1] op_sel_hi:[0,1,0] neg_lo:[1,0,0] neg_hi:[1,0,0]
	v_mov_b32_e32 v27, v13
	v_mov_b32_e32 v19, v11
	v_pk_add_f32 v[2:3], v[40:41], v[50:51] neg_lo:[0,1] neg_hi:[0,1]
	v_pk_add_f32 v[4:5], v[40:41], v[50:51]
	v_pk_add_f32 v[40:41], v[0:1], v[40:41]
	v_pk_fma_f32 v[14:15], v[76:77], v[32:33], v[44:45] op_sel:[0,0,1] op_sel_hi:[1,1,0]
	v_pk_fma_f32 v[28:29], v[76:77], v[32:33], v[44:45] op_sel:[0,0,1] op_sel_hi:[0,1,0] neg_lo:[1,0,0] neg_hi:[1,0,0]
	v_pk_fma_f32 v[32:33], v[72:73], v[30:31], v[42:43] op_sel:[0,0,1] op_sel_hi:[1,1,0]
	v_pk_fma_f32 v[30:31], v[72:73], v[30:31], v[42:43] op_sel:[0,0,1] op_sel_hi:[0,1,0] neg_lo:[1,0,0] neg_hi:[1,0,0]
	;; [unrolled: 2-line block ×3, first 2 shown]
	v_mov_b32_e32 v25, v7
	v_mov_b32_e32 v35, v9
	v_pk_add_f32 v[6:7], v[18:19], v[26:27] neg_lo:[0,1] neg_hi:[0,1]
	v_pk_add_f32 v[8:9], v[18:19], v[26:27]
	v_pk_add_f32 v[18:19], v[40:41], v[18:19]
	v_mov_b32_e32 v23, v17
	v_mov_b32_e32 v33, v31
	;; [unrolled: 1-line block ×3, first 2 shown]
	v_pk_mul_f32 v[36:37], v[2:3], s[18:19] op_sel_hi:[1,0]
	v_pk_add_f32 v[18:19], v[18:19], v[24:25]
	v_mov_b32_e32 v15, v29
	v_pk_add_f32 v[10:11], v[24:25], v[22:23] neg_lo:[0,1] neg_hi:[0,1]
	v_pk_mul_f32 v[42:43], v[6:7], s[36:37] op_sel_hi:[1,0]
	v_pk_fma_f32 v[48:49], v[4:5], s[4:5], v[36:37] op_sel:[0,0,1] op_sel_hi:[1,0,0]
	v_pk_fma_f32 v[36:37], v[4:5], s[4:5], v[36:37] op_sel:[0,0,1] op_sel_hi:[1,0,0] neg_lo:[0,0,1] neg_hi:[0,0,1]
	v_pk_add_f32 v[18:19], v[18:19], v[32:33]
	v_pk_add_f32 v[12:13], v[24:25], v[22:23]
	v_pk_add_f32 v[16:17], v[32:33], v[14:15] neg_lo:[0,1] neg_hi:[0,1]
	v_pk_mul_f32 v[44:45], v[10:11], s[30:31] op_sel_hi:[1,0]
	v_pk_fma_f32 v[52:53], v[8:9], s[10:11], v[42:43] op_sel:[0,0,1] op_sel_hi:[1,0,0]
	v_pk_fma_f32 v[42:43], v[8:9], s[10:11], v[42:43] op_sel:[0,0,1] op_sel_hi:[1,0,0] neg_lo:[0,0,1] neg_hi:[0,0,1]
	v_mov_b32_e32 v58, v48
	v_mov_b32_e32 v59, v37
	v_pk_add_f32 v[18:19], v[18:19], v[38:39]
	v_pk_add_f32 v[20:21], v[32:33], v[14:15]
	v_pk_add_f32 v[28:29], v[38:39], v[34:35] neg_lo:[0,1] neg_hi:[0,1]
	v_pk_mul_f32 v[46:47], v[16:17], s[16:17] op_sel_hi:[1,0]
	v_pk_fma_f32 v[54:55], v[12:13], s[12:13], v[44:45] op_sel:[0,0,1] op_sel_hi:[1,0,0]
	v_pk_fma_f32 v[44:45], v[12:13], s[12:13], v[44:45] op_sel:[0,0,1] op_sel_hi:[1,0,0] neg_lo:[0,0,1] neg_hi:[0,0,1]
	v_mov_b32_e32 v66, v52
	v_mov_b32_e32 v67, v43
	v_pk_add_f32 v[58:59], v[0:1], v[58:59]
	v_pk_add_f32 v[18:19], v[18:19], v[34:35]
	;; [unrolled: 1-line block ×3, first 2 shown]
	v_pk_fma_f32 v[56:57], v[20:21], s[14:15], v[46:47] op_sel:[0,0,1] op_sel_hi:[1,0,0]
	v_pk_fma_f32 v[46:47], v[20:21], s[14:15], v[46:47] op_sel:[0,0,1] op_sel_hi:[1,0,0] neg_lo:[0,0,1] neg_hi:[0,0,1]
	v_mov_b32_e32 v68, v54
	v_mov_b32_e32 v69, v45
	v_pk_add_f32 v[58:59], v[66:67], v[58:59]
	v_pk_mul_f32 v[66:67], v[28:29], s[22:23] op_sel_hi:[1,0]
	v_pk_add_f32 v[14:15], v[18:19], v[14:15]
	v_mov_b32_e32 v70, v56
	v_mov_b32_e32 v71, v47
	v_pk_add_f32 v[58:59], v[68:69], v[58:59]
	v_pk_fma_f32 v[68:69], v[30:31], s[20:21], v[66:67] op_sel:[0,0,1] op_sel_hi:[1,0,0]
	v_pk_fma_f32 v[66:67], v[30:31], s[20:21], v[66:67] op_sel:[0,0,1] op_sel_hi:[1,0,0] neg_lo:[0,0,1] neg_hi:[0,0,1]
	v_pk_add_f32 v[14:15], v[14:15], v[22:23]
	v_pk_add_f32 v[58:59], v[70:71], v[58:59]
	v_mov_b32_e32 v70, v68
	v_mov_b32_e32 v71, v67
	v_pk_add_f32 v[14:15], v[14:15], v[26:27]
	v_pk_add_f32 v[58:59], v[70:71], v[58:59]
	;; [unrolled: 1-line block ×3, first 2 shown]
	ds_write2_b64 v82, v[14:15], v[58:59] offset0:44 offset1:128
	v_pk_mul_f32 v[14:15], v[2:3], s[36:37] op_sel_hi:[1,0]
	v_pk_mul_f32 v[18:19], v[6:7], s[16:17] op_sel_hi:[1,0]
	v_pk_fma_f32 v[32:33], v[4:5], s[10:11], v[14:15] op_sel:[0,0,1] op_sel_hi:[1,0,0]
	v_pk_fma_f32 v[14:15], v[4:5], s[10:11], v[14:15] op_sel:[0,0,1] op_sel_hi:[1,0,0] neg_lo:[0,0,1] neg_hi:[0,0,1]
	v_mov_b32_e32 v34, v32
	v_mov_b32_e32 v35, v15
	v_pk_fma_f32 v[38:39], v[8:9], s[14:15], v[18:19] op_sel:[0,0,1] op_sel_hi:[1,0,0]
	v_pk_fma_f32 v[18:19], v[8:9], s[14:15], v[18:19] op_sel:[0,0,1] op_sel_hi:[1,0,0] neg_lo:[0,0,1] neg_hi:[0,0,1]
	v_pk_mul_f32 v[22:23], v[10:11], s[38:39] op_sel_hi:[1,0]
	v_pk_add_f32 v[34:35], v[0:1], v[34:35]
	v_mov_b32_e32 v40, v38
	v_mov_b32_e32 v41, v19
	v_pk_add_f32 v[34:35], v[40:41], v[34:35]
	v_pk_fma_f32 v[40:41], v[12:13], s[20:21], v[22:23] op_sel:[0,0,1] op_sel_hi:[1,0,0]
	v_pk_fma_f32 v[22:23], v[12:13], s[20:21], v[22:23] op_sel:[0,0,1] op_sel_hi:[1,0,0] neg_lo:[0,0,1] neg_hi:[0,0,1]
	v_pk_mul_f32 v[24:25], v[16:17], s[28:29] op_sel_hi:[1,0]
	v_mov_b32_e32 v50, v40
	v_mov_b32_e32 v51, v23
	v_pk_add_f32 v[34:35], v[50:51], v[34:35]
	v_pk_fma_f32 v[50:51], v[20:21], s[12:13], v[24:25] op_sel:[0,0,1] op_sel_hi:[1,0,0]
	v_pk_fma_f32 v[24:25], v[20:21], s[12:13], v[24:25] op_sel:[0,0,1] op_sel_hi:[1,0,0] neg_lo:[0,0,1] neg_hi:[0,0,1]
	v_pk_mul_f32 v[26:27], v[28:29], s[24:25] op_sel_hi:[1,0]
	v_mov_b32_e32 v58, v50
	v_mov_b32_e32 v59, v25
	v_pk_add_f32 v[34:35], v[58:59], v[34:35]
	v_pk_fma_f32 v[58:59], v[30:31], s[4:5], v[26:27] op_sel:[0,0,1] op_sel_hi:[1,0,0]
	v_pk_fma_f32 v[26:27], v[30:31], s[4:5], v[26:27] op_sel:[0,0,1] op_sel_hi:[1,0,0] neg_lo:[0,0,1] neg_hi:[0,0,1]
	v_mov_b32_e32 v70, v58
	v_mov_b32_e32 v71, v27
	v_pk_add_f32 v[34:35], v[70:71], v[34:35]
	v_pk_mul_f32 v[70:71], v[2:3], s[30:31] op_sel_hi:[1,0]
	v_pk_mul_f32 v[76:77], v[6:7], s[38:39] op_sel_hi:[1,0]
	v_pk_fma_f32 v[72:73], v[4:5], s[12:13], v[70:71] op_sel:[0,0,1] op_sel_hi:[1,0,0]
	v_pk_fma_f32 v[70:71], v[4:5], s[12:13], v[70:71] op_sel:[0,0,1] op_sel_hi:[1,0,0] neg_lo:[0,0,1] neg_hi:[0,0,1]
	v_mov_b32_e32 v74, v72
	v_mov_b32_e32 v75, v71
	v_pk_fma_f32 v[78:79], v[8:9], s[20:21], v[76:77] op_sel:[0,0,1] op_sel_hi:[1,0,0]
	v_pk_fma_f32 v[76:77], v[8:9], s[20:21], v[76:77] op_sel:[0,0,1] op_sel_hi:[1,0,0] neg_lo:[0,0,1] neg_hi:[0,0,1]
	v_pk_add_f32 v[74:75], v[0:1], v[74:75]
	v_mov_b32_e32 v80, v78
	v_mov_b32_e32 v81, v77
	v_pk_add_f32 v[74:75], v[80:81], v[74:75]
	v_pk_mul_f32 v[80:81], v[10:11], s[26:27] op_sel_hi:[1,0]
	v_add_u32_e32 v15, 0x400, v82
	v_pk_fma_f32 v[84:85], v[12:13], s[10:11], v[80:81] op_sel:[0,0,1] op_sel_hi:[1,0,0]
	v_pk_fma_f32 v[80:81], v[12:13], s[10:11], v[80:81] op_sel:[0,0,1] op_sel_hi:[1,0,0] neg_lo:[0,0,1] neg_hi:[0,0,1]
	v_mov_b32_e32 v86, v84
	v_mov_b32_e32 v87, v81
	v_pk_add_f32 v[74:75], v[86:87], v[74:75]
	v_pk_mul_f32 v[86:87], v[16:17], s[18:19] op_sel_hi:[1,0]
	v_pk_mul_f32 v[96:97], v[16:17], s[22:23] op_sel_hi:[1,0]
	v_pk_fma_f32 v[88:89], v[20:21], s[4:5], v[86:87] op_sel:[0,0,1] op_sel_hi:[1,0,0]
	v_pk_fma_f32 v[86:87], v[20:21], s[4:5], v[86:87] op_sel:[0,0,1] op_sel_hi:[1,0,0] neg_lo:[0,0,1] neg_hi:[0,0,1]
	v_mov_b32_e32 v90, v88
	v_mov_b32_e32 v91, v87
	v_pk_add_f32 v[74:75], v[90:91], v[74:75]
	v_pk_mul_f32 v[90:91], v[28:29], s[16:17] op_sel_hi:[1,0]
	v_pk_mul_f32 v[98:99], v[28:29], s[26:27] op_sel_hi:[1,0]
	v_pk_fma_f32 v[92:93], v[30:31], s[14:15], v[90:91] op_sel:[0,0,1] op_sel_hi:[1,0,0]
	v_pk_fma_f32 v[90:91], v[30:31], s[14:15], v[90:91] op_sel:[0,0,1] op_sel_hi:[1,0,0] neg_lo:[0,0,1] neg_hi:[0,0,1]
	v_mov_b32_e32 v94, v92
	v_mov_b32_e32 v95, v91
	v_pk_add_f32 v[74:75], v[94:95], v[74:75]
	ds_write2_b64 v15, v[34:35], v[74:75] offset0:84 offset1:168
	v_pk_mul_f32 v[34:35], v[2:3], s[16:17] op_sel_hi:[1,0]
	v_pk_mul_f32 v[74:75], v[6:7], s[28:29] op_sel_hi:[1,0]
	v_pk_fma_f32 v[100:101], v[4:5], s[14:15], v[34:35] op_sel:[0,0,1] op_sel_hi:[1,0,0]
	v_pk_fma_f32 v[34:35], v[4:5], s[14:15], v[34:35] op_sel:[0,0,1] op_sel_hi:[1,0,0] neg_lo:[0,0,1] neg_hi:[0,0,1]
	v_mov_b32_e32 v102, v100
	v_mov_b32_e32 v103, v35
	v_pk_fma_f32 v[104:105], v[8:9], s[12:13], v[74:75] op_sel:[0,0,1] op_sel_hi:[1,0,0]
	v_pk_fma_f32 v[74:75], v[8:9], s[12:13], v[74:75] op_sel:[0,0,1] op_sel_hi:[1,0,0] neg_lo:[0,0,1] neg_hi:[0,0,1]
	v_pk_mul_f32 v[94:95], v[10:11], s[18:19] op_sel_hi:[1,0]
	v_pk_add_f32 v[102:103], v[0:1], v[102:103]
	v_mov_b32_e32 v106, v104
	v_mov_b32_e32 v107, v75
	v_pk_add_f32 v[102:103], v[106:107], v[102:103]
	v_pk_fma_f32 v[106:107], v[12:13], s[4:5], v[94:95] op_sel:[0,0,1] op_sel_hi:[1,0,0]
	v_pk_fma_f32 v[94:95], v[12:13], s[4:5], v[94:95] op_sel:[0,0,1] op_sel_hi:[1,0,0] neg_lo:[0,0,1] neg_hi:[0,0,1]
	v_mov_b32_e32 v108, v106
	v_mov_b32_e32 v109, v95
	v_pk_add_f32 v[102:103], v[108:109], v[102:103]
	v_pk_fma_f32 v[108:109], v[20:21], s[20:21], v[96:97] op_sel:[0,0,1] op_sel_hi:[1,0,0]
	v_pk_fma_f32 v[96:97], v[20:21], s[20:21], v[96:97] op_sel:[0,0,1] op_sel_hi:[1,0,0] neg_lo:[0,0,1] neg_hi:[0,0,1]
	;; [unrolled: 5-line block ×3, first 2 shown]
	v_mov_b32_e32 v112, v110
	v_mov_b32_e32 v113, v99
	v_pk_mul_f32 v[2:3], v[2:3], s[22:23] op_sel_hi:[1,0]
	v_pk_add_f32 v[102:103], v[112:113], v[102:103]
	v_pk_fma_f32 v[112:113], v[4:5], s[20:21], v[2:3] op_sel:[0,0,1] op_sel_hi:[1,0,0]
	v_pk_fma_f32 v[2:3], v[4:5], s[20:21], v[2:3] op_sel:[0,0,1] op_sel_hi:[1,0,0] neg_lo:[0,0,1] neg_hi:[0,0,1]
	v_pk_mul_f32 v[6:7], v[6:7], s[24:25] op_sel_hi:[1,0]
	v_mov_b32_e32 v4, v112
	v_mov_b32_e32 v5, v3
	v_pk_fma_f32 v[114:115], v[8:9], s[4:5], v[6:7] op_sel:[0,0,1] op_sel_hi:[1,0,0]
	v_pk_fma_f32 v[6:7], v[8:9], s[4:5], v[6:7] op_sel:[0,0,1] op_sel_hi:[1,0,0] neg_lo:[0,0,1] neg_hi:[0,0,1]
	v_pk_add_f32 v[4:5], v[0:1], v[4:5]
	v_mov_b32_e32 v8, v114
	v_mov_b32_e32 v9, v7
	v_pk_add_f32 v[4:5], v[8:9], v[4:5]
	v_pk_mul_f32 v[8:9], v[10:11], s[16:17] op_sel_hi:[1,0]
	v_add_u32_e32 v3, 0x800, v82
	v_pk_fma_f32 v[10:11], v[12:13], s[14:15], v[8:9] op_sel:[0,0,1] op_sel_hi:[1,0,0]
	v_pk_fma_f32 v[8:9], v[12:13], s[14:15], v[8:9] op_sel:[0,0,1] op_sel_hi:[1,0,0] neg_lo:[0,0,1] neg_hi:[0,0,1]
	v_mov_b32_e32 v12, v10
	v_mov_b32_e32 v13, v9
	v_pk_add_f32 v[4:5], v[12:13], v[4:5]
	v_pk_mul_f32 v[12:13], v[16:17], s[26:27] op_sel_hi:[1,0]
	v_mov_b32_e32 v35, v101
	v_pk_fma_f32 v[16:17], v[20:21], s[10:11], v[12:13] op_sel:[0,0,1] op_sel_hi:[1,0,0]
	v_pk_fma_f32 v[12:13], v[20:21], s[10:11], v[12:13] op_sel:[0,0,1] op_sel_hi:[1,0,0] neg_lo:[0,0,1] neg_hi:[0,0,1]
	v_mov_b32_e32 v20, v16
	v_mov_b32_e32 v21, v13
	v_pk_add_f32 v[4:5], v[20:21], v[4:5]
	v_pk_mul_f32 v[20:21], v[28:29], s[30:31] op_sel_hi:[1,0]
	v_mov_b32_e32 v7, v115
	v_pk_fma_f32 v[28:29], v[30:31], s[12:13], v[20:21] op_sel:[0,0,1] op_sel_hi:[1,0,0]
	v_pk_fma_f32 v[20:21], v[30:31], s[12:13], v[20:21] op_sel:[0,0,1] op_sel_hi:[1,0,0] neg_lo:[0,0,1] neg_hi:[0,0,1]
	v_mov_b32_e32 v30, v28
	v_mov_b32_e32 v31, v21
	v_pk_add_f32 v[4:5], v[30:31], v[4:5]
	ds_write2_b64 v3, v[102:103], v[4:5] offset0:124 offset1:208
	v_mov_b32_e32 v3, v113
	v_pk_add_f32 v[2:3], v[0:1], v[2:3]
	v_pk_add_f32 v[4:5], v[0:1], v[34:35]
	v_mov_b32_e32 v75, v105
	v_pk_add_f32 v[2:3], v[6:7], v[2:3]
	v_mov_b32_e32 v9, v11
	;; [unrolled: 2-line block ×7, first 2 shown]
	v_pk_add_f32 v[2:3], v[20:21], v[2:3]
	v_pk_add_f32 v[4:5], v[98:99], v[4:5]
	v_add_u32_e32 v6, 0x1000, v82
	v_mov_b32_e32 v71, v73
	v_mov_b32_e32 v15, v33
	;; [unrolled: 1-line block ×3, first 2 shown]
	ds_write2_b64 v6, v[2:3], v[4:5] offset0:36 offset1:120
	v_pk_add_f32 v[2:3], v[0:1], v[70:71]
	v_mov_b32_e32 v77, v79
	v_pk_add_f32 v[4:5], v[0:1], v[14:15]
	v_mov_b32_e32 v19, v39
	;; [unrolled: 2-line block ×12, first 2 shown]
	v_pk_add_f32 v[2:3], v[90:91], v[2:3]
	v_pk_add_f32 v[4:5], v[26:27], v[4:5]
	v_add_u32_e32 v6, 0x1400, v82
	v_pk_add_f32 v[0:1], v[66:67], v[0:1]
	ds_write2_b64 v6, v[2:3], v[4:5] offset0:76 offset1:160
	ds_write_b64 v82, v[0:1] offset:7072
.LBB0_31:
	s_or_b64 exec, exec, s[34:35]
	s_waitcnt lgkmcnt(0)
	; wave barrier
	s_waitcnt lgkmcnt(0)
	s_and_saveexec_b64 s[4:5], s[0:1]
	s_cbranch_execz .LBB0_33
; %bb.32:
	v_mul_lo_u32 v0, s3, v64
	v_mul_lo_u32 v1, s2, v65
	v_mad_u64_u32 v[4:5], s[0:1], s2, v64, 0
	v_lshl_add_u32 v10, v62, 3, 0
	v_add3_u32 v5, v5, v1, v0
	ds_read2_b64 v[0:3], v10 offset1:44
	v_lshl_add_u64 v[4:5], v[4:5], 3, s[6:7]
	v_mov_b32_e32 v63, 0
	v_lshl_add_u64 v[8:9], v[60:61], 3, v[4:5]
	v_lshl_add_u64 v[4:5], v[62:63], 3, v[8:9]
	s_waitcnt lgkmcnt(0)
	global_store_dwordx2 v[4:5], v[0:1], off
	ds_read2_b64 v[4:7], v10 offset0:88 offset1:132
	v_add_u32_e32 v0, 44, v62
	v_mov_b32_e32 v1, v63
	v_lshl_add_u64 v[0:1], v[0:1], 3, v[8:9]
	global_store_dwordx2 v[0:1], v[2:3], off
	v_add_u32_e32 v0, 0x58, v62
	v_mov_b32_e32 v1, v63
	v_lshl_add_u64 v[0:1], v[0:1], 3, v[8:9]
	s_waitcnt lgkmcnt(0)
	global_store_dwordx2 v[0:1], v[4:5], off
	v_add_u32_e32 v0, 0x84, v62
	v_mov_b32_e32 v1, v63
	v_lshl_add_u64 v[4:5], v[0:1], 3, v[8:9]
	ds_read2_b64 v[0:3], v10 offset0:176 offset1:220
	global_store_dwordx2 v[4:5], v[6:7], off
	v_add_u32_e32 v4, 0xb0, v62
	v_mov_b32_e32 v5, v63
	v_lshl_add_u64 v[4:5], v[4:5], 3, v[8:9]
	v_add_u32_e32 v11, 0x800, v10
	s_waitcnt lgkmcnt(0)
	global_store_dwordx2 v[4:5], v[0:1], off
	ds_read2_b64 v[4:7], v11 offset0:8 offset1:52
	v_add_u32_e32 v0, 0xdc, v62
	v_mov_b32_e32 v1, v63
	v_lshl_add_u64 v[0:1], v[0:1], 3, v[8:9]
	global_store_dwordx2 v[0:1], v[2:3], off
	v_add_u32_e32 v0, 0x108, v62
	v_mov_b32_e32 v1, v63
	v_lshl_add_u64 v[0:1], v[0:1], 3, v[8:9]
	s_waitcnt lgkmcnt(0)
	global_store_dwordx2 v[0:1], v[4:5], off
	v_add_u32_e32 v0, 0x134, v62
	v_mov_b32_e32 v1, v63
	v_lshl_add_u64 v[4:5], v[0:1], 3, v[8:9]
	ds_read2_b64 v[0:3], v11 offset0:96 offset1:140
	global_store_dwordx2 v[4:5], v[6:7], off
	v_add_u32_e32 v4, 0x160, v62
	v_mov_b32_e32 v5, v63
	v_lshl_add_u64 v[4:5], v[4:5], 3, v[8:9]
	s_waitcnt lgkmcnt(0)
	global_store_dwordx2 v[4:5], v[0:1], off
	ds_read2_b64 v[4:7], v11 offset0:184 offset1:228
	v_add_u32_e32 v0, 0x18c, v62
	v_mov_b32_e32 v1, v63
	v_lshl_add_u64 v[0:1], v[0:1], 3, v[8:9]
	global_store_dwordx2 v[0:1], v[2:3], off
	v_add_u32_e32 v0, 0x1b8, v62
	v_mov_b32_e32 v1, v63
	v_lshl_add_u64 v[0:1], v[0:1], 3, v[8:9]
	s_waitcnt lgkmcnt(0)
	global_store_dwordx2 v[0:1], v[4:5], off
	v_add_u32_e32 v0, 0x1e4, v62
	v_mov_b32_e32 v1, v63
	v_add_u32_e32 v11, 0x1000, v10
	v_lshl_add_u64 v[4:5], v[0:1], 3, v[8:9]
	ds_read2_b64 v[0:3], v11 offset0:16 offset1:60
	global_store_dwordx2 v[4:5], v[6:7], off
	v_add_u32_e32 v4, 0x210, v62
	v_mov_b32_e32 v5, v63
	v_lshl_add_u64 v[4:5], v[4:5], 3, v[8:9]
	s_waitcnt lgkmcnt(0)
	global_store_dwordx2 v[4:5], v[0:1], off
	ds_read2_b64 v[4:7], v11 offset0:104 offset1:148
	v_add_u32_e32 v0, 0x23c, v62
	v_mov_b32_e32 v1, v63
	v_lshl_add_u64 v[0:1], v[0:1], 3, v[8:9]
	global_store_dwordx2 v[0:1], v[2:3], off
	v_add_u32_e32 v0, 0x268, v62
	v_mov_b32_e32 v1, v63
	v_lshl_add_u64 v[0:1], v[0:1], 3, v[8:9]
	s_waitcnt lgkmcnt(0)
	global_store_dwordx2 v[0:1], v[4:5], off
	v_add_u32_e32 v0, 0x294, v62
	v_mov_b32_e32 v1, v63
	v_lshl_add_u64 v[4:5], v[0:1], 3, v[8:9]
	ds_read2_b64 v[0:3], v11 offset0:192 offset1:236
	global_store_dwordx2 v[4:5], v[6:7], off
	v_add_u32_e32 v4, 0x2c0, v62
	v_mov_b32_e32 v5, v63
	v_lshl_add_u64 v[4:5], v[4:5], 3, v[8:9]
	s_waitcnt lgkmcnt(0)
	global_store_dwordx2 v[4:5], v[0:1], off
	v_add_u32_e32 v4, 0x1800, v10
	ds_read2_b64 v[4:7], v4 offset0:24 offset1:68
	v_add_u32_e32 v0, 0x2ec, v62
	v_mov_b32_e32 v1, v63
	v_lshl_add_u64 v[0:1], v[0:1], 3, v[8:9]
	global_store_dwordx2 v[0:1], v[2:3], off
	v_add_u32_e32 v0, 0x318, v62
	v_mov_b32_e32 v1, v63
	ds_read_b64 v[2:3], v10 offset:7040
	v_lshl_add_u64 v[0:1], v[0:1], 3, v[8:9]
	s_waitcnt lgkmcnt(1)
	global_store_dwordx2 v[0:1], v[4:5], off
	v_add_u32_e32 v0, 0x344, v62
	v_mov_b32_e32 v1, v63
	v_lshl_add_u64 v[0:1], v[0:1], 3, v[8:9]
	v_add_u32_e32 v62, 0x370, v62
	global_store_dwordx2 v[0:1], v[6:7], off
	v_lshl_add_u64 v[0:1], v[62:63], 3, v[8:9]
	s_waitcnt lgkmcnt(0)
	global_store_dwordx2 v[0:1], v[2:3], off
.LBB0_33:
	s_endpgm
	.section	.rodata,"a",@progbits
	.p2align	6, 0x0
	.amdhsa_kernel fft_rtc_back_len924_factors_2_2_3_7_11_wgs_44_tpt_44_halfLds_sp_op_CI_CI_unitstride_sbrr_C2R_dirReg
		.amdhsa_group_segment_fixed_size 0
		.amdhsa_private_segment_fixed_size 0
		.amdhsa_kernarg_size 104
		.amdhsa_user_sgpr_count 2
		.amdhsa_user_sgpr_dispatch_ptr 0
		.amdhsa_user_sgpr_queue_ptr 0
		.amdhsa_user_sgpr_kernarg_segment_ptr 1
		.amdhsa_user_sgpr_dispatch_id 0
		.amdhsa_user_sgpr_kernarg_preload_length 0
		.amdhsa_user_sgpr_kernarg_preload_offset 0
		.amdhsa_user_sgpr_private_segment_size 0
		.amdhsa_uses_dynamic_stack 0
		.amdhsa_enable_private_segment 0
		.amdhsa_system_sgpr_workgroup_id_x 1
		.amdhsa_system_sgpr_workgroup_id_y 0
		.amdhsa_system_sgpr_workgroup_id_z 0
		.amdhsa_system_sgpr_workgroup_info 0
		.amdhsa_system_vgpr_workitem_id 0
		.amdhsa_next_free_vgpr 150
		.amdhsa_next_free_sgpr 40
		.amdhsa_accum_offset 152
		.amdhsa_reserve_vcc 1
		.amdhsa_float_round_mode_32 0
		.amdhsa_float_round_mode_16_64 0
		.amdhsa_float_denorm_mode_32 3
		.amdhsa_float_denorm_mode_16_64 3
		.amdhsa_dx10_clamp 1
		.amdhsa_ieee_mode 1
		.amdhsa_fp16_overflow 0
		.amdhsa_tg_split 0
		.amdhsa_exception_fp_ieee_invalid_op 0
		.amdhsa_exception_fp_denorm_src 0
		.amdhsa_exception_fp_ieee_div_zero 0
		.amdhsa_exception_fp_ieee_overflow 0
		.amdhsa_exception_fp_ieee_underflow 0
		.amdhsa_exception_fp_ieee_inexact 0
		.amdhsa_exception_int_div_zero 0
	.end_amdhsa_kernel
	.text
.Lfunc_end0:
	.size	fft_rtc_back_len924_factors_2_2_3_7_11_wgs_44_tpt_44_halfLds_sp_op_CI_CI_unitstride_sbrr_C2R_dirReg, .Lfunc_end0-fft_rtc_back_len924_factors_2_2_3_7_11_wgs_44_tpt_44_halfLds_sp_op_CI_CI_unitstride_sbrr_C2R_dirReg
                                        ; -- End function
	.section	.AMDGPU.csdata,"",@progbits
; Kernel info:
; codeLenInByte = 14232
; NumSgprs: 46
; NumVgprs: 150
; NumAgprs: 0
; TotalNumVgprs: 150
; ScratchSize: 0
; MemoryBound: 0
; FloatMode: 240
; IeeeMode: 1
; LDSByteSize: 0 bytes/workgroup (compile time only)
; SGPRBlocks: 5
; VGPRBlocks: 18
; NumSGPRsForWavesPerEU: 46
; NumVGPRsForWavesPerEU: 150
; AccumOffset: 152
; Occupancy: 3
; WaveLimiterHint : 1
; COMPUTE_PGM_RSRC2:SCRATCH_EN: 0
; COMPUTE_PGM_RSRC2:USER_SGPR: 2
; COMPUTE_PGM_RSRC2:TRAP_HANDLER: 0
; COMPUTE_PGM_RSRC2:TGID_X_EN: 1
; COMPUTE_PGM_RSRC2:TGID_Y_EN: 0
; COMPUTE_PGM_RSRC2:TGID_Z_EN: 0
; COMPUTE_PGM_RSRC2:TIDIG_COMP_CNT: 0
; COMPUTE_PGM_RSRC3_GFX90A:ACCUM_OFFSET: 37
; COMPUTE_PGM_RSRC3_GFX90A:TG_SPLIT: 0
	.text
	.p2alignl 6, 3212836864
	.fill 256, 4, 3212836864
	.type	__hip_cuid_725435d76e78ff51,@object ; @__hip_cuid_725435d76e78ff51
	.section	.bss,"aw",@nobits
	.globl	__hip_cuid_725435d76e78ff51
__hip_cuid_725435d76e78ff51:
	.byte	0                               ; 0x0
	.size	__hip_cuid_725435d76e78ff51, 1

	.ident	"AMD clang version 19.0.0git (https://github.com/RadeonOpenCompute/llvm-project roc-6.4.0 25133 c7fe45cf4b819c5991fe208aaa96edf142730f1d)"
	.section	".note.GNU-stack","",@progbits
	.addrsig
	.addrsig_sym __hip_cuid_725435d76e78ff51
	.amdgpu_metadata
---
amdhsa.kernels:
  - .agpr_count:     0
    .args:
      - .actual_access:  read_only
        .address_space:  global
        .offset:         0
        .size:           8
        .value_kind:     global_buffer
      - .offset:         8
        .size:           8
        .value_kind:     by_value
      - .actual_access:  read_only
        .address_space:  global
        .offset:         16
        .size:           8
        .value_kind:     global_buffer
      - .actual_access:  read_only
        .address_space:  global
        .offset:         24
        .size:           8
        .value_kind:     global_buffer
      - .actual_access:  read_only
        .address_space:  global
        .offset:         32
        .size:           8
        .value_kind:     global_buffer
      - .offset:         40
        .size:           8
        .value_kind:     by_value
      - .actual_access:  read_only
        .address_space:  global
        .offset:         48
        .size:           8
        .value_kind:     global_buffer
      - .actual_access:  read_only
        .address_space:  global
        .offset:         56
        .size:           8
        .value_kind:     global_buffer
      - .offset:         64
        .size:           4
        .value_kind:     by_value
      - .actual_access:  read_only
        .address_space:  global
        .offset:         72
        .size:           8
        .value_kind:     global_buffer
      - .actual_access:  read_only
        .address_space:  global
        .offset:         80
        .size:           8
        .value_kind:     global_buffer
      - .actual_access:  read_only
        .address_space:  global
        .offset:         88
        .size:           8
        .value_kind:     global_buffer
      - .actual_access:  write_only
        .address_space:  global
        .offset:         96
        .size:           8
        .value_kind:     global_buffer
    .group_segment_fixed_size: 0
    .kernarg_segment_align: 8
    .kernarg_segment_size: 104
    .language:       OpenCL C
    .language_version:
      - 2
      - 0
    .max_flat_workgroup_size: 44
    .name:           fft_rtc_back_len924_factors_2_2_3_7_11_wgs_44_tpt_44_halfLds_sp_op_CI_CI_unitstride_sbrr_C2R_dirReg
    .private_segment_fixed_size: 0
    .sgpr_count:     46
    .sgpr_spill_count: 0
    .symbol:         fft_rtc_back_len924_factors_2_2_3_7_11_wgs_44_tpt_44_halfLds_sp_op_CI_CI_unitstride_sbrr_C2R_dirReg.kd
    .uniform_work_group_size: 1
    .uses_dynamic_stack: false
    .vgpr_count:     150
    .vgpr_spill_count: 0
    .wavefront_size: 64
amdhsa.target:   amdgcn-amd-amdhsa--gfx950
amdhsa.version:
  - 1
  - 2
...

	.end_amdgpu_metadata
